;; amdgpu-corpus repo=ROCm/rocFFT kind=compiled arch=gfx950 opt=O3
	.text
	.amdgcn_target "amdgcn-amd-amdhsa--gfx950"
	.amdhsa_code_object_version 6
	.protected	bluestein_single_back_len1989_dim1_sp_op_CI_CI ; -- Begin function bluestein_single_back_len1989_dim1_sp_op_CI_CI
	.globl	bluestein_single_back_len1989_dim1_sp_op_CI_CI
	.p2align	8
	.type	bluestein_single_back_len1989_dim1_sp_op_CI_CI,@function
bluestein_single_back_len1989_dim1_sp_op_CI_CI: ; @bluestein_single_back_len1989_dim1_sp_op_CI_CI
; %bb.0:
	s_load_dwordx4 s[4:7], s[0:1], 0x28
	v_mul_u32_u24_e32 v1, 0x1ad, v0
	v_mov_b32_e32 v3, 0
	v_add_u32_sdwa v4, s2, v1 dst_sel:DWORD dst_unused:UNUSED_PAD src0_sel:DWORD src1_sel:WORD_1
	v_mov_b32_e32 v5, v3
	v_accvgpr_write_b32 a2, v4
	s_waitcnt lgkmcnt(0)
	v_cmp_gt_u64_e32 vcc, s[4:5], v[4:5]
	s_and_saveexec_b64 s[2:3], vcc
	s_cbranch_execz .LBB0_23
; %bb.1:
	s_load_dwordx2 s[12:13], s[0:1], 0x0
	s_load_dwordx2 s[14:15], s[0:1], 0x38
	s_movk_i32 s2, 0x99
	v_mul_lo_u16_sdwa v1, v1, s2 dst_sel:DWORD dst_unused:UNUSED_PAD src0_sel:WORD_1 src1_sel:DWORD
	v_sub_u16_e32 v2, v0, v1
	s_movk_i32 s2, 0x75
	v_accvgpr_write_b32 a0, v2
	v_cmp_gt_u16_e64 s[4:5], s2, v2
	v_accvgpr_write_b32 a1, v3
	v_lshlrev_b32_e32 v92, 3, v2
	s_and_saveexec_b64 s[2:3], s[4:5]
	s_cbranch_execz .LBB0_3
; %bb.2:
	s_load_dwordx2 s[8:9], s[0:1], 0x18
	v_accvgpr_read_b32 v12, a2
	v_accvgpr_read_b32 v11, a1
	v_mov_b32_e32 v0, s6
	v_mov_b32_e32 v1, s7
	s_waitcnt lgkmcnt(0)
	s_load_dwordx4 s[8:11], s[8:9], 0x0
	v_accvgpr_read_b32 v10, a0
	v_mov_b32_e32 v68, 0x3a8
	v_mov_b32_e32 v93, 0
	v_lshl_add_u64 v[18:19], s[12:13], 0, v[92:93]
	s_waitcnt lgkmcnt(0)
	v_mad_u64_u32 v[2:3], s[6:7], s10, v12, 0
	v_mad_u64_u32 v[4:5], s[6:7], s8, v10, 0
	v_mov_b32_e32 v6, v3
	v_mov_b32_e32 v8, v5
	v_mad_u64_u32 v[6:7], s[6:7], s11, v12, v[6:7]
	v_mov_b32_e32 v3, v6
	v_mad_u64_u32 v[6:7], s[6:7], s9, v10, v[8:9]
	v_mov_b32_e32 v5, v6
	v_lshl_add_u64 v[0:1], v[2:3], 3, v[0:1]
	v_lshl_add_u64 v[2:3], v[4:5], 3, v[0:1]
	v_mad_u64_u32 v[6:7], s[6:7], s8, v68, v[2:3]
	s_mul_i32 s6, s9, 0x3a8
	s_nop 0
	v_add_u32_e32 v7, s6, v7
	v_mad_u64_u32 v[8:9], s[10:11], s8, v68, v[6:7]
	v_add_u32_e32 v9, s6, v9
	s_movk_i32 s7, 0x1000
	v_mad_u64_u32 v[16:17], s[10:11], s8, v68, v[8:9]
	v_add_co_u32_e32 v20, vcc, s7, v18
	v_add_u32_e32 v17, s6, v17
	s_nop 0
	v_addc_co_u32_e32 v21, vcc, 0, v19, vcc
	global_load_dwordx2 v[0:1], v[2:3], off
	global_load_dwordx2 v[4:5], v[6:7], off
	s_nop 0
	global_load_dwordx2 v[2:3], v[8:9], off
	global_load_dwordx2 v[12:13], v92, s[12:13]
	global_load_dwordx2 v[10:11], v92, s[12:13] offset:936
	global_load_dwordx2 v[6:7], v92, s[12:13] offset:1872
	s_nop 0
	global_load_dwordx2 v[8:9], v92, s[12:13] offset:2808
	global_load_dwordx2 v[14:15], v92, s[12:13] offset:3744
	global_load_dwordx2 v[24:25], v[20:21], off offset:584
	global_load_dwordx2 v[26:27], v[20:21], off offset:1520
	;; [unrolled: 1-line block ×4, first 2 shown]
	global_load_dwordx2 v[32:33], v[16:17], off
	v_mad_u64_u32 v[16:17], s[10:11], s8, v68, v[16:17]
	v_add_u32_e32 v17, s6, v17
	global_load_dwordx2 v[20:21], v[16:17], off
	v_mad_u64_u32 v[16:17], s[10:11], s8, v68, v[16:17]
	v_add_u32_e32 v17, s6, v17
	;; [unrolled: 3-line block ×6, first 2 shown]
	s_movk_i32 s9, 0x2000
	global_load_dwordx2 v[42:43], v[16:17], off
	v_mad_u64_u32 v[16:17], s[10:11], s8, v68, v[16:17]
	v_add_co_u32_e32 v22, vcc, s9, v18
	v_add_u32_e32 v17, s6, v17
	s_nop 0
	v_addc_co_u32_e32 v23, vcc, 0, v19, vcc
	global_load_dwordx2 v[44:45], v[16:17], off
	global_load_dwordx2 v[46:47], v[22:23], off offset:232
	v_mad_u64_u32 v[16:17], s[10:11], s8, v68, v[16:17]
	v_add_u32_e32 v17, s6, v17
	global_load_dwordx2 v[48:49], v[16:17], off
	v_mad_u64_u32 v[16:17], s[10:11], s8, v68, v[16:17]
	v_add_u32_e32 v17, s6, v17
	global_load_dwordx2 v[50:51], v[22:23], off offset:1168
	global_load_dwordx2 v[52:53], v[16:17], off
	global_load_dwordx2 v[54:55], v[22:23], off offset:2104
	global_load_dwordx2 v[56:57], v[22:23], off offset:3040
	v_mad_u64_u32 v[16:17], s[10:11], s8, v68, v[16:17]
	v_add_u32_e32 v17, s6, v17
	global_load_dwordx2 v[58:59], v[16:17], off
	global_load_dwordx2 v[60:61], v[22:23], off offset:3976
	v_mad_u64_u32 v[16:17], s[10:11], s8, v68, v[16:17]
	v_add_u32_e32 v17, s6, v17
	s_movk_i32 s7, 0x3000
	global_load_dwordx2 v[22:23], v[16:17], off
	v_add_co_u32_e32 v18, vcc, s7, v18
	v_mad_u64_u32 v[16:17], s[10:11], s8, v68, v[16:17]
	s_nop 0
	v_addc_co_u32_e32 v19, vcc, 0, v19, vcc
	v_add_u32_e32 v17, s6, v17
	global_load_dwordx2 v[62:63], v[18:19], off offset:816
	global_load_dwordx2 v[64:65], v[16:17], off
	global_load_dwordx2 v[66:67], v[18:19], off offset:1752
	v_mad_u64_u32 v[16:17], s[8:9], s8, v68, v[16:17]
	v_add_u32_e32 v17, s6, v17
	global_load_dwordx2 v[68:69], v[16:17], off
	global_load_dwordx2 v[70:71], v[18:19], off offset:2688
	v_add_u32_e32 v18, 0x400, v92
	s_waitcnt vmcnt(30)
	v_mul_f32_e32 v16, v1, v13
	v_mul_f32_e32 v13, v0, v13
	v_fmac_f32_e32 v16, v0, v12
	v_fma_f32 v17, v1, v12, -v13
	s_waitcnt vmcnt(29)
	v_mul_f32_e32 v0, v5, v11
	v_mul_f32_e32 v1, v4, v11
	v_fmac_f32_e32 v0, v4, v10
	v_fma_f32 v1, v5, v10, -v1
	ds_write2_b64 v92, v[16:17], v[0:1] offset1:117
	s_waitcnt vmcnt(28)
	v_mul_f32_e32 v0, v3, v7
	v_mul_f32_e32 v1, v2, v7
	v_fmac_f32_e32 v0, v2, v6
	v_fma_f32 v1, v3, v6, -v1
	s_waitcnt vmcnt(21)
	v_mul_f32_e32 v2, v33, v9
	v_mul_f32_e32 v3, v32, v9
	v_fmac_f32_e32 v2, v32, v8
	v_fma_f32 v3, v33, v8, -v3
	ds_write2_b64 v18, v[0:1], v[2:3] offset0:106 offset1:223
	s_waitcnt vmcnt(20)
	v_mul_f32_e32 v0, v20, v15
	v_fma_f32 v1, v21, v14, -v0
	v_mul_f32_e32 v0, v21, v15
	s_waitcnt vmcnt(19)
	v_mul_f32_e32 v2, v35, v25
	v_mul_f32_e32 v3, v34, v25
	v_fmac_f32_e32 v0, v20, v14
	v_fmac_f32_e32 v2, v34, v24
	v_fma_f32 v3, v35, v24, -v3
	v_add_u32_e32 v4, 0xc00, v92
	ds_write2_b64 v4, v[0:1], v[2:3] offset0:84 offset1:201
	s_waitcnt vmcnt(18)
	v_mul_f32_e32 v0, v37, v27
	v_mul_f32_e32 v1, v36, v27
	s_waitcnt vmcnt(17)
	v_mul_f32_e32 v2, v39, v29
	v_mul_f32_e32 v3, v38, v29
	v_fmac_f32_e32 v0, v36, v26
	v_fma_f32 v1, v37, v26, -v1
	v_fmac_f32_e32 v2, v38, v28
	v_fma_f32 v3, v39, v28, -v3
	v_add_u32_e32 v4, 0x1400, v92
	ds_write2_b64 v4, v[0:1], v[2:3] offset0:62 offset1:179
	s_waitcnt vmcnt(16)
	v_mul_f32_e32 v0, v41, v31
	v_mul_f32_e32 v1, v40, v31
	s_waitcnt vmcnt(13)
	v_mul_f32_e32 v2, v43, v47
	v_mul_f32_e32 v3, v42, v47
	v_fmac_f32_e32 v0, v40, v30
	v_fma_f32 v1, v41, v30, -v1
	;; [unrolled: 12-line block ×5, first 2 shown]
	v_fmac_f32_e32 v2, v64, v66
	v_fma_f32 v3, v65, v66, -v3
	v_add_u32_e32 v4, 0x3000, v92
	ds_write2_b64 v4, v[0:1], v[2:3] offset0:102 offset1:219
	s_waitcnt vmcnt(0)
	v_mul_f32_e32 v0, v69, v71
	v_mul_f32_e32 v1, v68, v71
	v_fmac_f32_e32 v0, v68, v70
	v_fma_f32 v1, v69, v70, -v1
	ds_write_b64 v92, v[0:1] offset:14976
.LBB0_3:
	s_or_b64 exec, exec, s[2:3]
	s_load_dwordx2 s[2:3], s[0:1], 0x20
	s_load_dwordx2 s[6:7], s[0:1], 0x8
	v_mov_b64_e32 v[0:1], 0
	s_waitcnt lgkmcnt(0)
	s_barrier
	s_waitcnt lgkmcnt(0)
                                        ; implicit-def: $vgpr6
                                        ; implicit-def: $vgpr12
                                        ; implicit-def: $vgpr10
                                        ; implicit-def: $vgpr20
                                        ; implicit-def: $vgpr18
                                        ; implicit-def: $vgpr28
                                        ; implicit-def: $vgpr26
                                        ; implicit-def: $vgpr62
	s_and_saveexec_b64 s[0:1], s[4:5]
	s_cbranch_execz .LBB0_5
; %bb.4:
	v_add_u32_e32 v4, 0x400, v92
	ds_read2_b64 v[24:27], v4 offset0:106 offset1:223
	v_add_u32_e32 v4, 0xc00, v92
	ds_read2_b64 v[16:19], v4 offset0:84 offset1:201
	;; [unrolled: 2-line block ×3, first 2 shown]
	v_add_u32_e32 v4, 0x1c00, v92
	v_add_u32_e32 v12, 0x2400, v92
	;; [unrolled: 1-line block ×4, first 2 shown]
	ds_read2_b64 v[0:3], v92 offset1:117
	ds_read2_b64 v[4:7], v4 offset0:40 offset1:157
	ds_read2_b64 v[12:15], v12 offset0:18 offset1:135
	;; [unrolled: 1-line block ×4, first 2 shown]
	ds_read_b64 v[62:63], v92 offset:14976
.LBB0_5:
	s_or_b64 exec, exec, s[0:1]
	s_waitcnt lgkmcnt(0)
	v_pk_add_f32 v[38:39], v[2:3], v[62:63] neg_lo:[0,1] neg_hi:[0,1]
	s_mov_b32 s30, 0xbf7ee86f
	v_pk_add_f32 v[36:37], v[62:63], v[2:3]
	v_pk_add_f32 v[40:41], v[24:25], v[30:31] neg_lo:[0,1] neg_hi:[0,1]
	s_mov_b32 s0, 0x3dbcf732
	v_pk_mul_f32 v[44:45], v[38:39], s[30:31] op_sel_hi:[1,0]
	s_mov_b32 s18, 0xbe3c28d5
	v_pk_add_f32 v[34:35], v[30:31], v[24:25]
	v_pk_fma_f32 v[64:65], v[36:37], s[0:1], v[44:45] op_sel:[0,0,1] op_sel_hi:[1,0,0]
	v_pk_fma_f32 v[66:67], v[36:37], s[0:1], v[44:45] op_sel:[0,0,1] op_sel_hi:[1,0,0] neg_lo:[0,0,1] neg_hi:[0,0,1]
	s_mov_b32 s10, 0xbf7ba420
	v_pk_mul_f32 v[46:47], v[40:41], s[18:19] op_sel_hi:[1,0]
	v_mov_b32_e32 v44, v64
	v_mov_b32_e32 v45, v67
	v_pk_fma_f32 v[68:69], v[34:35], s[10:11], v[46:47] op_sel:[0,0,1] op_sel_hi:[1,0,0]
	v_pk_fma_f32 v[70:71], v[34:35], s[10:11], v[46:47] op_sel:[0,0,1] op_sel_hi:[1,0,0] neg_lo:[0,0,1] neg_hi:[0,0,1]
	v_pk_add_f32 v[42:43], v[26:27], v[28:29] neg_lo:[0,1] neg_hi:[0,1]
	v_pk_add_f32 v[44:45], v[44:45], v[0:1]
	v_mov_b32_e32 v46, v68
	v_mov_b32_e32 v47, v71
	s_mov_b32 s40, 0x3f763a35
	v_pk_add_f32 v[32:33], v[28:29], v[26:27]
	v_pk_add_f32 v[44:45], v[46:47], v[44:45]
	s_mov_b32 s8, 0xbe8c1d8e
	v_pk_mul_f32 v[46:47], v[42:43], s[40:41] op_sel_hi:[1,0]
	s_mov_b32 s22, 0x3eb8f4ab
	v_pk_fma_f32 v[72:73], v[32:33], s[8:9], v[46:47] op_sel:[0,0,1] op_sel_hi:[1,0,0]
	v_pk_fma_f32 v[74:75], v[32:33], s[8:9], v[46:47] op_sel:[0,0,1] op_sel_hi:[1,0,0] neg_lo:[0,0,1] neg_hi:[0,0,1]
	v_mov_b32_e32 v46, v72
	v_mov_b32_e32 v47, v75
	v_pk_add_f32 v[50:51], v[16:17], v[22:23] neg_lo:[0,1] neg_hi:[0,1]
	v_pk_add_f32 v[46:47], v[46:47], v[44:45]
	s_mov_b32 s20, 0x3f6eb680
	v_pk_add_f32 v[44:45], v[22:23], v[16:17]
	v_pk_mul_f32 v[48:49], v[50:51], s[22:23] op_sel_hi:[1,0]
	s_mov_b32 s48, 0xbf65296c
	v_pk_fma_f32 v[76:77], v[44:45], s[20:21], v[48:49] op_sel:[0,0,1] op_sel_hi:[1,0,0]
	v_pk_fma_f32 v[78:79], v[44:45], s[20:21], v[48:49] op_sel:[0,0,1] op_sel_hi:[1,0,0] neg_lo:[0,0,1] neg_hi:[0,0,1]
	v_mov_b32_e32 v48, v76
	v_mov_b32_e32 v49, v79
	v_pk_add_f32 v[52:53], v[18:19], v[20:21] neg_lo:[0,1] neg_hi:[0,1]
	v_pk_add_f32 v[48:49], v[48:49], v[46:47]
	s_mov_b32 s16, 0x3ee437d1
	v_pk_add_f32 v[46:47], v[20:21], v[18:19]
	v_pk_mul_f32 v[54:55], v[52:53], s[48:49] op_sel_hi:[1,0]
	s_mov_b32 s28, 0xbf06c442
	v_pk_fma_f32 v[80:81], v[46:47], s[16:17], v[54:55] op_sel:[0,0,1] op_sel_hi:[1,0,0]
	v_pk_fma_f32 v[84:85], v[46:47], s[16:17], v[54:55] op_sel:[0,0,1] op_sel_hi:[1,0,0] neg_lo:[0,0,1] neg_hi:[0,0,1]
	v_mov_b32_e32 v54, v80
	v_mov_b32_e32 v55, v85
	v_pk_add_f32 v[56:57], v[54:55], v[48:49]
	v_pk_add_f32 v[54:55], v[8:9], v[14:15] neg_lo:[0,1] neg_hi:[0,1]
	s_mov_b32 s24, 0xbf59a7d5
	v_pk_add_f32 v[48:49], v[14:15], v[8:9]
	v_pk_mul_f32 v[58:59], v[54:55], s[28:29] op_sel_hi:[1,0]
	s_mov_b32 s36, 0xbeb8f4ab
	v_pk_fma_f32 v[86:87], v[48:49], s[24:25], v[58:59] op_sel:[0,0,1] op_sel_hi:[1,0,0]
	v_pk_fma_f32 v[88:89], v[48:49], s[24:25], v[58:59] op_sel:[0,0,1] op_sel_hi:[1,0,0] neg_lo:[0,0,1] neg_hi:[0,0,1]
	v_mov_b32_e32 v58, v86
	v_mov_b32_e32 v59, v89
	v_pk_add_f32 v[60:61], v[58:59], v[56:57]
	v_pk_mul_f32 v[56:57], v[38:39], s[36:37] op_sel_hi:[1,0]
	s_mov_b32 s46, 0xbf2c7751
	v_pk_fma_f32 v[106:107], v[36:37], s[20:21], v[56:57] op_sel:[0,0,1] op_sel_hi:[1,0,0]
	v_pk_fma_f32 v[104:105], v[36:37], s[20:21], v[56:57] op_sel:[0,0,1] op_sel_hi:[1,0,0] neg_lo:[0,0,1] neg_hi:[0,0,1]
	s_mov_b32 s26, 0x3f3d2fb0
	v_pk_mul_f32 v[58:59], v[40:41], s[46:47] op_sel_hi:[1,0]
	v_mov_b32_e32 v56, v106
	v_mov_b32_e32 v57, v105
	v_pk_fma_f32 v[110:111], v[34:35], s[26:27], v[58:59] op_sel:[0,0,1] op_sel_hi:[1,0,0]
	v_pk_fma_f32 v[108:109], v[34:35], s[26:27], v[58:59] op_sel:[0,0,1] op_sel_hi:[1,0,0] neg_lo:[0,0,1] neg_hi:[0,0,1]
	v_mov_b32_e32 v58, v110
	v_mov_b32_e32 v59, v109
	v_pk_add_f32 v[56:57], v[56:57], v[0:1]
	s_mov_b32 s38, 0xbf763a35
	v_pk_add_f32 v[56:57], v[58:59], v[56:57]
	v_pk_mul_f32 v[58:59], v[42:43], s[48:49] op_sel_hi:[1,0]
	s_mov_b32 s42, 0xbf4c4adb
	v_pk_fma_f32 v[94:95], v[32:33], s[16:17], v[58:59] op_sel:[0,0,1] op_sel_hi:[1,0,0]
	v_pk_fma_f32 v[96:97], v[32:33], s[16:17], v[58:59] op_sel:[0,0,1] op_sel_hi:[1,0,0] neg_lo:[0,0,1] neg_hi:[0,0,1]
	v_mov_b32_e32 v58, v94
	v_mov_b32_e32 v59, v97
	v_pk_add_f32 v[56:57], v[58:59], v[56:57]
	v_pk_mul_f32 v[58:59], v[50:51], s[30:31] op_sel_hi:[1,0]
	s_mov_b32 s34, 0xbf1a4643
	v_pk_fma_f32 v[112:113], v[44:45], s[0:1], v[58:59] op_sel:[0,0,1] op_sel_hi:[1,0,0]
	v_pk_fma_f32 v[114:115], v[44:45], s[0:1], v[58:59] op_sel:[0,0,1] op_sel_hi:[1,0,0] neg_lo:[0,0,1] neg_hi:[0,0,1]
	v_mov_b32_e32 v58, v112
	v_mov_b32_e32 v59, v115
	;; [unrolled: 7-line block ×4, first 2 shown]
	v_pk_add_f32 v[82:83], v[58:59], v[56:57]
	v_pk_add_f32 v[58:59], v[10:11], v[12:13] neg_lo:[0,1] neg_hi:[0,1]
	v_pk_add_f32 v[56:57], v[12:13], v[10:11]
	v_pk_mul_f32 v[90:91], v[58:59], s[28:29] op_sel_hi:[1,0]
	v_pk_mul_f32 v[98:99], v[40:41], s[42:43] op_sel_hi:[1,0]
	v_pk_fma_f32 v[132:133], v[56:57], s[24:25], v[90:91] op_sel:[0,0,1] op_sel_hi:[1,0,0]
	v_pk_fma_f32 v[134:135], v[56:57], s[24:25], v[90:91] op_sel:[0,0,1] op_sel_hi:[1,0,0] neg_lo:[0,0,1] neg_hi:[0,0,1]
	v_mov_b32_e32 v90, v132
	v_mov_b32_e32 v91, v135
	v_pk_add_f32 v[204:205], v[90:91], v[82:83]
	v_pk_mul_f32 v[82:83], v[38:39], s[46:47] op_sel_hi:[1,0]
	v_pk_mul_f32 v[90:91], v[40:41], s[30:31] op_sel_hi:[1,0]
	v_pk_fma_f32 v[120:121], v[36:37], s[26:27], v[82:83] op_sel:[0,0,1] op_sel_hi:[1,0,0]
	v_pk_fma_f32 v[122:123], v[36:37], s[26:27], v[82:83] op_sel:[0,0,1] op_sel_hi:[1,0,0] neg_lo:[0,0,1] neg_hi:[0,0,1]
	v_mov_b32_e32 v82, v120
	v_mov_b32_e32 v83, v123
	v_pk_fma_f32 v[126:127], v[34:35], s[0:1], v[90:91] op_sel:[0,0,1] op_sel_hi:[1,0,0]
	v_pk_fma_f32 v[128:129], v[34:35], s[0:1], v[90:91] op_sel:[0,0,1] op_sel_hi:[1,0,0] neg_lo:[0,0,1] neg_hi:[0,0,1]
	v_mov_b32_e32 v90, v126
	v_mov_b32_e32 v91, v129
	v_pk_add_f32 v[82:83], v[82:83], v[0:1]
	v_pk_fma_f32 v[158:159], v[34:35], s[34:35], v[98:99] op_sel:[0,0,1] op_sel_hi:[1,0,0]
	v_pk_add_f32 v[82:83], v[90:91], v[82:83]
	v_pk_mul_f32 v[90:91], v[42:43], s[42:43] op_sel_hi:[1,0]
	v_pk_fma_f32 v[160:161], v[34:35], s[34:35], v[98:99] op_sel:[0,0,1] op_sel_hi:[1,0,0] neg_lo:[0,0,1] neg_hi:[0,0,1]
	v_pk_fma_f32 v[136:137], v[32:33], s[34:35], v[90:91] op_sel:[0,0,1] op_sel_hi:[1,0,0]
	v_pk_fma_f32 v[138:139], v[32:33], s[34:35], v[90:91] op_sel:[0,0,1] op_sel_hi:[1,0,0] neg_lo:[0,0,1] neg_hi:[0,0,1]
	v_mov_b32_e32 v90, v136
	v_mov_b32_e32 v91, v139
	v_pk_add_f32 v[82:83], v[90:91], v[82:83]
	v_pk_mul_f32 v[90:91], v[50:51], s[18:19] op_sel_hi:[1,0]
	v_mov_b32_e32 v98, v158
	v_pk_fma_f32 v[140:141], v[44:45], s[10:11], v[90:91] op_sel:[0,0,1] op_sel_hi:[1,0,0]
	v_pk_fma_f32 v[142:143], v[44:45], s[10:11], v[90:91] op_sel:[0,0,1] op_sel_hi:[1,0,0] neg_lo:[0,0,1] neg_hi:[0,0,1]
	v_mov_b32_e32 v90, v140
	v_mov_b32_e32 v91, v143
	v_pk_add_f32 v[82:83], v[90:91], v[82:83]
	v_pk_mul_f32 v[90:91], v[52:53], s[56:57] op_sel_hi:[1,0]
	v_mov_b32_e32 v99, v161
	v_pk_fma_f32 v[144:145], v[46:47], s[24:25], v[90:91] op_sel:[0,0,1] op_sel_hi:[1,0,0]
	v_pk_fma_f32 v[146:147], v[46:47], s[24:25], v[90:91] op_sel:[0,0,1] op_sel_hi:[1,0,0] neg_lo:[0,0,1] neg_hi:[0,0,1]
	v_mov_b32_e32 v90, v144
	v_mov_b32_e32 v91, v147
	v_pk_add_f32 v[82:83], v[90:91], v[82:83]
	v_pk_mul_f32 v[90:91], v[54:55], s[40:41] op_sel_hi:[1,0]
	s_mov_b32 s44, 0x3e3c28d5
	v_pk_fma_f32 v[148:149], v[48:49], s[8:9], v[90:91] op_sel:[0,0,1] op_sel_hi:[1,0,0]
	v_pk_fma_f32 v[150:151], v[48:49], s[8:9], v[90:91] op_sel:[0,0,1] op_sel_hi:[1,0,0] neg_lo:[0,0,1] neg_hi:[0,0,1]
	v_mov_b32_e32 v90, v148
	v_mov_b32_e32 v91, v151
	v_pk_add_f32 v[82:83], v[90:91], v[82:83]
	v_pk_mul_f32 v[90:91], v[58:59], s[50:51] op_sel_hi:[1,0]
	s_mov_b32 s52, 0x3f2c7751
	;; [unrolled: 7-line block ×3, first 2 shown]
	v_pk_fma_f32 v[152:153], v[36:37], s[16:17], v[90:91] op_sel:[0,0,1] op_sel_hi:[1,0,0]
	v_pk_fma_f32 v[154:155], v[36:37], s[16:17], v[90:91] op_sel:[0,0,1] op_sel_hi:[1,0,0] neg_lo:[0,0,1] neg_hi:[0,0,1]
	v_mov_b32_e32 v90, v152
	v_mov_b32_e32 v91, v155
	v_pk_add_f32 v[90:91], v[90:91], v[0:1]
	v_pk_add_f32 v[102:103], v[4:5], v[6:7] neg_lo:[0,1] neg_hi:[0,1]
	v_pk_add_f32 v[90:91], v[98:99], v[90:91]
	v_pk_mul_f32 v[98:99], v[42:43], s[44:45] op_sel_hi:[1,0]
	v_pk_mul_f32 v[100:101], v[102:103], s[22:23] op_sel_hi:[1,0]
	v_pk_fma_f32 v[168:169], v[32:33], s[10:11], v[98:99] op_sel:[0,0,1] op_sel_hi:[1,0,0]
	v_pk_fma_f32 v[170:171], v[32:33], s[10:11], v[98:99] op_sel:[0,0,1] op_sel_hi:[1,0,0] neg_lo:[0,0,1] neg_hi:[0,0,1]
	v_mov_b32_e32 v98, v168
	v_mov_b32_e32 v99, v171
	v_pk_add_f32 v[90:91], v[98:99], v[90:91]
	v_pk_mul_f32 v[98:99], v[50:51], s[40:41] op_sel_hi:[1,0]
	s_nop 0
	v_pk_fma_f32 v[172:173], v[44:45], s[8:9], v[98:99] op_sel:[0,0,1] op_sel_hi:[1,0,0]
	v_pk_fma_f32 v[174:175], v[44:45], s[8:9], v[98:99] op_sel:[0,0,1] op_sel_hi:[1,0,0] neg_lo:[0,0,1] neg_hi:[0,0,1]
	v_mov_b32_e32 v98, v172
	v_mov_b32_e32 v99, v175
	v_pk_add_f32 v[90:91], v[98:99], v[90:91]
	v_pk_mul_f32 v[98:99], v[52:53], s[52:53] op_sel_hi:[1,0]
	s_barrier
	v_pk_fma_f32 v[176:177], v[46:47], s[26:27], v[98:99] op_sel:[0,0,1] op_sel_hi:[1,0,0]
	v_pk_fma_f32 v[178:179], v[46:47], s[26:27], v[98:99] op_sel:[0,0,1] op_sel_hi:[1,0,0] neg_lo:[0,0,1] neg_hi:[0,0,1]
	v_mov_b32_e32 v98, v176
	v_mov_b32_e32 v99, v179
	v_pk_add_f32 v[90:91], v[98:99], v[90:91]
	v_pk_mul_f32 v[98:99], v[54:55], s[36:37] op_sel_hi:[1,0]
	s_nop 0
	v_pk_fma_f32 v[184:185], v[48:49], s[20:21], v[98:99] op_sel:[0,0,1] op_sel_hi:[1,0,0]
	v_pk_fma_f32 v[186:187], v[48:49], s[20:21], v[98:99] op_sel:[0,0,1] op_sel_hi:[1,0,0] neg_lo:[0,0,1] neg_hi:[0,0,1]
	v_mov_b32_e32 v98, v184
	v_mov_b32_e32 v99, v187
	v_pk_add_f32 v[90:91], v[98:99], v[90:91]
	v_pk_mul_f32 v[98:99], v[58:59], s[30:31] op_sel_hi:[1,0]
	s_nop 0
	;; [unrolled: 7-line block ×3, first 2 shown]
	v_pk_fma_f32 v[164:165], v[56:57], s[34:35], v[90:91] op_sel:[0,0,1] op_sel_hi:[1,0,0]
	v_pk_fma_f32 v[166:167], v[56:57], s[34:35], v[90:91] op_sel:[0,0,1] op_sel_hi:[1,0,0] neg_lo:[0,0,1] neg_hi:[0,0,1]
	v_mov_b32_e32 v90, v164
	v_mov_b32_e32 v91, v167
	v_pk_add_f32 v[60:61], v[90:91], v[60:61]
	v_pk_add_f32 v[90:91], v[6:7], v[4:5]
	s_nop 0
	v_pk_fma_f32 v[196:197], v[90:91], s[20:21], v[100:101] op_sel:[0,0,1] op_sel_hi:[1,0,0]
	v_pk_fma_f32 v[198:199], v[90:91], s[20:21], v[100:101] op_sel:[0,0,1] op_sel_hi:[1,0,0] neg_lo:[0,0,1] neg_hi:[0,0,1]
	v_mov_b32_e32 v100, v196
	v_mov_b32_e32 v101, v199
	v_pk_add_f32 v[82:83], v[100:101], v[82:83]
	v_pk_mul_f32 v[100:101], v[102:103], s[28:29] op_sel_hi:[1,0]
	s_nop 0
	v_pk_fma_f32 v[192:193], v[90:91], s[24:25], v[100:101] op_sel:[0,0,1] op_sel_hi:[1,0,0]
	v_pk_fma_f32 v[194:195], v[90:91], s[24:25], v[100:101] op_sel:[0,0,1] op_sel_hi:[1,0,0] neg_lo:[0,0,1] neg_hi:[0,0,1]
	v_mov_b32_e32 v100, v192
	v_mov_b32_e32 v101, v195
	v_pk_add_f32 v[98:99], v[100:101], v[98:99]
	v_pk_mul_f32 v[100:101], v[102:103], s[52:53] op_sel_hi:[1,0]
	;; [unrolled: 7-line block ×3, first 2 shown]
	s_nop 0
	v_pk_fma_f32 v[200:201], v[90:91], s[10:11], v[60:61] op_sel:[0,0,1] op_sel_hi:[1,0,0]
	v_pk_fma_f32 v[202:203], v[90:91], s[10:11], v[60:61] op_sel:[0,0,1] op_sel_hi:[1,0,0] neg_lo:[0,0,1] neg_hi:[0,0,1]
	v_mov_b32_e32 v60, v200
	v_mov_b32_e32 v61, v203
	v_pk_add_f32 v[60:61], v[60:61], v[204:205]
	v_accvgpr_read_b32 v205, a1
	v_accvgpr_read_b32 v204, a0
	v_mul_lo_u16_e32 v64, 17, v204
	v_accvgpr_write_b32 a3, v64
	s_and_saveexec_b64 s[44:45], s[4:5]
	s_cbranch_execz .LBB0_7
; %bb.6:
	v_pk_add_f32 v[2:3], v[2:3], v[0:1]
	v_mov_b32_e32 v105, v107
	v_pk_add_f32 v[2:3], v[24:25], v[2:3]
	v_mov_b32_e32 v109, v111
	;; [unrolled: 2-line block ×7, first 2 shown]
	v_pk_add_f32 v[2:3], v[4:5], v[2:3]
	v_pk_add_f32 v[4:5], v[104:105], v[0:1]
	;; [unrolled: 1-line block ×13, first 2 shown]
	v_accvgpr_read_b32 v6, a3
	v_pk_add_f32 v[2:3], v[30:31], v[2:3]
	v_pk_add_f32 v[4:5], v[134:135], v[4:5]
	v_mov_b32_e32 v203, v201
	v_pk_add_f32 v[2:3], v[62:63], v[2:3]
	v_lshlrev_b32_e32 v93, 3, v6
	v_pk_add_f32 v[4:5], v[202:203], v[4:5]
	v_mov_b32_e32 v123, v121
	v_mov_b32_e32 v155, v153
	ds_write2_b64 v93, v[2:3], v[4:5] offset1:1
	v_pk_add_f32 v[2:3], v[122:123], v[0:1]
	v_mov_b32_e32 v129, v127
	v_pk_add_f32 v[4:5], v[154:155], v[0:1]
	v_mov_b32_e32 v161, v159
	;; [unrolled: 2-line block ×14, first 2 shown]
	v_pk_add_f32 v[2:3], v[198:199], v[2:3]
	v_pk_add_f32 v[4:5], v[194:195], v[4:5]
	v_mov_b32_e32 v67, v65
	ds_write2_b64 v93, v[2:3], v[4:5] offset0:2 offset1:3
	v_pk_add_f32 v[2:3], v[66:67], v[0:1]
	v_mov_b32_e32 v71, v69
	v_pk_add_f32 v[2:3], v[70:71], v[2:3]
	v_mov_b32_e32 v75, v73
	;; [unrolled: 2-line block ×7, first 2 shown]
	v_pk_mul_f32 v[4:5], v[38:39], s[38:39] op_sel_hi:[1,0]
	v_pk_add_f32 v[64:65], v[182:183], v[2:3]
	v_pk_fma_f32 v[2:3], v[36:37], s[8:9], v[4:5] op_sel:[0,0,1] op_sel_hi:[1,0,0] neg_lo:[0,0,1] neg_hi:[0,0,1]
	v_pk_fma_f32 v[4:5], v[36:37], s[8:9], v[4:5] op_sel:[0,0,1] op_sel_hi:[1,0,0]
	v_pk_mul_f32 v[8:9], v[40:41], s[56:57] op_sel_hi:[1,0]
	v_mov_b32_e32 v6, v2
	v_mov_b32_e32 v7, v5
	v_pk_add_f32 v[10:11], v[6:7], v[0:1]
	v_pk_fma_f32 v[6:7], v[34:35], s[24:25], v[8:9] op_sel:[0,0,1] op_sel_hi:[1,0,0] neg_lo:[0,0,1] neg_hi:[0,0,1]
	v_pk_fma_f32 v[8:9], v[34:35], s[24:25], v[8:9] op_sel:[0,0,1] op_sel_hi:[1,0,0]
	v_pk_mul_f32 v[12:13], v[42:43], s[52:53] op_sel_hi:[1,0]
	v_mov_b32_e32 v14, v6
	v_mov_b32_e32 v15, v9
	;; [unrolled: 6-line block ×4, first 2 shown]
	s_mov_b32 s48, 0x3f7ee86f
	v_pk_add_f32 v[22:23], v[22:23], v[18:19]
	v_pk_fma_f32 v[18:19], v[46:47], s[10:11], v[20:21] op_sel:[0,0,1] op_sel_hi:[1,0,0] neg_lo:[0,0,1] neg_hi:[0,0,1]
	v_pk_fma_f32 v[20:21], v[46:47], s[10:11], v[20:21] op_sel:[0,0,1] op_sel_hi:[1,0,0]
	v_pk_mul_f32 v[24:25], v[54:55], s[48:49] op_sel_hi:[1,0]
	v_mov_b32_e32 v26, v18
	v_mov_b32_e32 v27, v21
	v_pk_add_f32 v[26:27], v[26:27], v[22:23]
	v_pk_fma_f32 v[22:23], v[48:49], s[0:1], v[24:25] op_sel:[0,0,1] op_sel_hi:[1,0,0] neg_lo:[0,0,1] neg_hi:[0,0,1]
	v_pk_fma_f32 v[24:25], v[48:49], s[0:1], v[24:25] op_sel:[0,0,1] op_sel_hi:[1,0,0]
	v_pk_mul_f32 v[28:29], v[58:59], s[36:37] op_sel_hi:[1,0]
	v_mov_b32_e32 v30, v22
	v_mov_b32_e32 v31, v25
	;; [unrolled: 6-line block ×3, first 2 shown]
	v_pk_add_f32 v[66:67], v[66:67], v[30:31]
	v_pk_fma_f32 v[30:31], v[90:91], s[34:35], v[62:63] op_sel:[0,0,1] op_sel_hi:[1,0,0] neg_lo:[0,0,1] neg_hi:[0,0,1]
	v_pk_fma_f32 v[62:63], v[90:91], s[34:35], v[62:63] op_sel:[0,0,1] op_sel_hi:[1,0,0]
	v_mov_b32_e32 v68, v30
	v_mov_b32_e32 v69, v63
	v_pk_add_f32 v[66:67], v[68:69], v[66:67]
	ds_write2_b64 v93, v[64:65], v[66:67] offset0:4 offset1:5
	v_pk_mul_f32 v[64:65], v[38:39], s[42:43] op_sel_hi:[1,0]
	v_pk_mul_f32 v[66:67], v[40:41], s[40:41] op_sel_hi:[1,0]
	v_pk_fma_f32 v[80:81], v[36:37], s[34:35], v[64:65] op_sel:[0,0,1] op_sel_hi:[1,0,0] neg_lo:[0,0,1] neg_hi:[0,0,1]
	v_pk_fma_f32 v[64:65], v[36:37], s[34:35], v[64:65] op_sel:[0,0,1] op_sel_hi:[1,0,0]
	v_mov_b32_e32 v84, v80
	v_mov_b32_e32 v85, v65
	v_pk_fma_f32 v[86:87], v[34:35], s[8:9], v[66:67] op_sel:[0,0,1] op_sel_hi:[1,0,0] neg_lo:[0,0,1] neg_hi:[0,0,1]
	v_pk_fma_f32 v[66:67], v[34:35], s[8:9], v[66:67] op_sel:[0,0,1] op_sel_hi:[1,0,0]
	v_pk_mul_f32 v[68:69], v[42:43], s[36:37] op_sel_hi:[1,0]
	v_pk_add_f32 v[84:85], v[84:85], v[0:1]
	v_mov_b32_e32 v88, v86
	v_mov_b32_e32 v89, v67
	v_pk_add_f32 v[84:85], v[88:89], v[84:85]
	v_pk_fma_f32 v[88:89], v[32:33], s[20:21], v[68:69] op_sel:[0,0,1] op_sel_hi:[1,0,0] neg_lo:[0,0,1] neg_hi:[0,0,1]
	v_pk_fma_f32 v[68:69], v[32:33], s[20:21], v[68:69] op_sel:[0,0,1] op_sel_hi:[1,0,0]
	v_pk_mul_f32 v[70:71], v[50:51], s[28:29] op_sel_hi:[1,0]
	v_mov_b32_e32 v94, v88
	v_mov_b32_e32 v95, v69
	v_pk_add_f32 v[84:85], v[94:95], v[84:85]
	v_pk_fma_f32 v[94:95], v[44:45], s[24:25], v[70:71] op_sel:[0,0,1] op_sel_hi:[1,0,0] neg_lo:[0,0,1] neg_hi:[0,0,1]
	v_pk_fma_f32 v[70:71], v[44:45], s[24:25], v[70:71] op_sel:[0,0,1] op_sel_hi:[1,0,0]
	v_pk_mul_f32 v[72:73], v[52:53], s[48:49] op_sel_hi:[1,0]
	;; [unrolled: 6-line block ×5, first 2 shown]
	v_mov_b32_e32 v108, v106
	v_mov_b32_e32 v109, v77
	v_pk_add_f32 v[84:85], v[108:109], v[84:85]
	v_pk_fma_f32 v[108:109], v[90:91], s[16:17], v[78:79] op_sel:[0,0,1] op_sel_hi:[1,0,0] neg_lo:[0,0,1] neg_hi:[0,0,1]
	v_pk_fma_f32 v[78:79], v[90:91], s[16:17], v[78:79] op_sel:[0,0,1] op_sel_hi:[1,0,0]
	v_mov_b32_e32 v110, v108
	v_mov_b32_e32 v111, v79
	v_pk_add_f32 v[84:85], v[110:111], v[84:85]
	v_pk_mul_f32 v[110:111], v[38:39], s[28:29] op_sel_hi:[1,0]
	v_pk_mul_f32 v[112:113], v[40:41], s[50:51] op_sel_hi:[1,0]
	v_pk_fma_f32 v[126:127], v[36:37], s[24:25], v[110:111] op_sel:[0,0,1] op_sel_hi:[1,0,0] neg_lo:[0,0,1] neg_hi:[0,0,1]
	v_pk_fma_f32 v[110:111], v[36:37], s[24:25], v[110:111] op_sel:[0,0,1] op_sel_hi:[1,0,0]
	v_mov_b32_e32 v128, v126
	v_mov_b32_e32 v129, v111
	v_pk_fma_f32 v[130:131], v[34:35], s[16:17], v[112:113] op_sel:[0,0,1] op_sel_hi:[1,0,0] neg_lo:[0,0,1] neg_hi:[0,0,1]
	v_pk_fma_f32 v[112:113], v[34:35], s[16:17], v[112:113] op_sel:[0,0,1] op_sel_hi:[1,0,0]
	v_pk_mul_f32 v[114:115], v[42:43], s[30:31] op_sel_hi:[1,0]
	v_pk_add_f32 v[128:129], v[128:129], v[0:1]
	v_mov_b32_e32 v132, v130
	v_mov_b32_e32 v133, v113
	v_pk_add_f32 v[128:129], v[132:133], v[128:129]
	v_pk_fma_f32 v[132:133], v[32:33], s[0:1], v[114:115] op_sel:[0,0,1] op_sel_hi:[1,0,0] neg_lo:[0,0,1] neg_hi:[0,0,1]
	v_pk_fma_f32 v[114:115], v[32:33], s[0:1], v[114:115] op_sel:[0,0,1] op_sel_hi:[1,0,0]
	v_pk_mul_f32 v[116:117], v[50:51], s[54:55] op_sel_hi:[1,0]
	v_mov_b32_e32 v134, v132
	v_mov_b32_e32 v135, v115
	v_pk_add_f32 v[128:129], v[134:135], v[128:129]
	v_pk_fma_f32 v[134:135], v[44:45], s[34:35], v[116:117] op_sel:[0,0,1] op_sel_hi:[1,0,0] neg_lo:[0,0,1] neg_hi:[0,0,1]
	v_pk_fma_f32 v[116:117], v[44:45], s[34:35], v[116:117] op_sel:[0,0,1] op_sel_hi:[1,0,0]
	v_pk_mul_f32 v[118:119], v[52:53], s[36:37] op_sel_hi:[1,0]
	;; [unrolled: 6-line block ×5, first 2 shown]
	v_mov_b32_e32 v142, v140
	v_mov_b32_e32 v143, v123
	v_pk_add_f32 v[128:129], v[142:143], v[128:129]
	v_pk_fma_f32 v[142:143], v[90:91], s[8:9], v[124:125] op_sel:[0,0,1] op_sel_hi:[1,0,0] neg_lo:[0,0,1] neg_hi:[0,0,1]
	v_pk_fma_f32 v[124:125], v[90:91], s[8:9], v[124:125] op_sel:[0,0,1] op_sel_hi:[1,0,0]
	v_mov_b32_e32 v144, v142
	v_mov_b32_e32 v145, v125
	v_pk_add_f32 v[128:129], v[144:145], v[128:129]
	v_pk_mul_f32 v[38:39], v[38:39], s[18:19] op_sel_hi:[1,0]
	ds_write2_b64 v93, v[84:85], v[128:129] offset0:6 offset1:7
	v_pk_mul_f32 v[40:41], v[40:41], s[22:23] op_sel_hi:[1,0]
	v_pk_mul_f32 v[84:85], v[102:103], s[48:49] op_sel_hi:[1,0]
	v_pk_fma_f32 v[102:103], v[36:37], s[10:11], v[38:39] op_sel:[0,0,1] op_sel_hi:[1,0,0] neg_lo:[0,0,1] neg_hi:[0,0,1]
	v_pk_fma_f32 v[36:37], v[36:37], s[10:11], v[38:39] op_sel:[0,0,1] op_sel_hi:[1,0,0]
	v_mov_b32_e32 v38, v102
	v_mov_b32_e32 v39, v37
	v_pk_fma_f32 v[128:129], v[34:35], s[20:21], v[40:41] op_sel:[0,0,1] op_sel_hi:[1,0,0] neg_lo:[0,0,1] neg_hi:[0,0,1]
	v_pk_fma_f32 v[34:35], v[34:35], s[20:21], v[40:41] op_sel:[0,0,1] op_sel_hi:[1,0,0]
	v_pk_mul_f32 v[42:43], v[42:43], s[28:29] op_sel_hi:[1,0]
	v_pk_add_f32 v[38:39], v[38:39], v[0:1]
	v_mov_b32_e32 v40, v128
	v_mov_b32_e32 v41, v35
	v_pk_add_f32 v[38:39], v[40:41], v[38:39]
	v_pk_fma_f32 v[40:41], v[32:33], s[24:25], v[42:43] op_sel:[0,0,1] op_sel_hi:[1,0,0] neg_lo:[0,0,1] neg_hi:[0,0,1]
	v_pk_fma_f32 v[32:33], v[32:33], s[24:25], v[42:43] op_sel:[0,0,1] op_sel_hi:[1,0,0]
	v_pk_mul_f32 v[50:51], v[50:51], s[52:53] op_sel_hi:[1,0]
	v_mov_b32_e32 v42, v40
	v_mov_b32_e32 v43, v33
	v_pk_add_f32 v[38:39], v[42:43], v[38:39]
	v_pk_fma_f32 v[42:43], v[44:45], s[26:27], v[50:51] op_sel:[0,0,1] op_sel_hi:[1,0,0] neg_lo:[0,0,1] neg_hi:[0,0,1]
	v_pk_fma_f32 v[44:45], v[44:45], s[26:27], v[50:51] op_sel:[0,0,1] op_sel_hi:[1,0,0]
	v_pk_mul_f32 v[52:53], v[52:53], s[42:43] op_sel_hi:[1,0]
	v_mov_b32_e32 v50, v42
	v_mov_b32_e32 v51, v45
	v_pk_add_f32 v[38:39], v[50:51], v[38:39]
	v_pk_fma_f32 v[50:51], v[46:47], s[34:35], v[52:53] op_sel:[0,0,1] op_sel_hi:[1,0,0] neg_lo:[0,0,1] neg_hi:[0,0,1]
	v_pk_fma_f32 v[46:47], v[46:47], s[34:35], v[52:53] op_sel:[0,0,1] op_sel_hi:[1,0,0]
	v_mov_b32_e32 v37, v103
	v_pk_mul_f32 v[54:55], v[54:55], s[50:51] op_sel_hi:[1,0]
	v_mov_b32_e32 v52, v50
	v_mov_b32_e32 v53, v47
	v_pk_add_f32 v[36:37], v[36:37], v[0:1]
	v_mov_b32_e32 v35, v129
	v_pk_add_f32 v[38:39], v[52:53], v[38:39]
	v_pk_fma_f32 v[52:53], v[48:49], s[16:17], v[54:55] op_sel:[0,0,1] op_sel_hi:[1,0,0] neg_lo:[0,0,1] neg_hi:[0,0,1]
	v_pk_fma_f32 v[48:49], v[48:49], s[16:17], v[54:55] op_sel:[0,0,1] op_sel_hi:[1,0,0]
	v_pk_add_f32 v[34:35], v[34:35], v[36:37]
	v_mov_b32_e32 v33, v41
	v_pk_mul_f32 v[58:59], v[58:59], s[38:39] op_sel_hi:[1,0]
	v_mov_b32_e32 v54, v52
	v_mov_b32_e32 v55, v49
	v_pk_add_f32 v[32:33], v[32:33], v[34:35]
	v_mov_b32_e32 v45, v43
	v_pk_add_f32 v[38:39], v[54:55], v[38:39]
	v_pk_fma_f32 v[54:55], v[56:57], s[8:9], v[58:59] op_sel:[0,0,1] op_sel_hi:[1,0,0] neg_lo:[0,0,1] neg_hi:[0,0,1]
	v_pk_fma_f32 v[56:57], v[56:57], s[8:9], v[58:59] op_sel:[0,0,1] op_sel_hi:[1,0,0]
	v_pk_add_f32 v[32:33], v[44:45], v[32:33]
	v_mov_b32_e32 v47, v51
	v_mov_b32_e32 v58, v54
	v_mov_b32_e32 v59, v57
	v_pk_add_f32 v[32:33], v[46:47], v[32:33]
	v_mov_b32_e32 v49, v53
	v_pk_add_f32 v[38:39], v[58:59], v[38:39]
	v_pk_fma_f32 v[58:59], v[90:91], s[0:1], v[84:85] op_sel:[0,0,1] op_sel_hi:[1,0,0] neg_lo:[0,0,1] neg_hi:[0,0,1]
	v_pk_fma_f32 v[84:85], v[90:91], s[0:1], v[84:85] op_sel:[0,0,1] op_sel_hi:[1,0,0]
	v_pk_add_f32 v[32:33], v[48:49], v[32:33]
	v_mov_b32_e32 v57, v55
	v_mov_b32_e32 v90, v58
	;; [unrolled: 1-line block ×3, first 2 shown]
	v_pk_add_f32 v[32:33], v[56:57], v[32:33]
	v_mov_b32_e32 v85, v59
	v_pk_add_f32 v[38:39], v[90:91], v[38:39]
	v_pk_add_f32 v[32:33], v[84:85], v[32:33]
	v_mov_b32_e32 v111, v127
	v_mov_b32_e32 v65, v81
	;; [unrolled: 1-line block ×3, first 2 shown]
	ds_write2_b64 v93, v[38:39], v[32:33] offset0:8 offset1:9
	v_pk_add_f32 v[32:33], v[110:111], v[0:1]
	v_mov_b32_e32 v113, v131
	v_pk_add_f32 v[34:35], v[64:65], v[0:1]
	v_mov_b32_e32 v67, v87
	;; [unrolled: 2-line block ×21, first 2 shown]
	v_pk_add_f32 v[32:33], v[124:125], v[32:33]
	v_pk_add_f32 v[34:35], v[78:79], v[34:35]
	;; [unrolled: 1-line block ×3, first 2 shown]
	ds_write2_b64 v93, v[32:33], v[34:35] offset0:10 offset1:11
	ds_write2_b64 v93, v[0:1], v[100:101] offset0:12 offset1:13
	;; [unrolled: 1-line block ×3, first 2 shown]
	ds_write_b64 v93, v[60:61] offset:128
.LBB0_7:
	s_or_b64 exec, exec, s[44:45]
	v_accvgpr_read_b32 v159, a1
	s_movk_i32 s0, 0xf1
	v_accvgpr_read_b32 v158, a0
	v_mul_lo_u16_sdwa v0, v158, s0 dst_sel:DWORD dst_unused:UNUSED_PAD src0_sel:BYTE_0 src1_sel:DWORD
	v_lshrrev_b16_e32 v47, 12, v0
	v_mul_lo_u16_e32 v0, 17, v47
	v_sub_u16_e32 v0, v158, v0
	v_and_b32_e32 v93, 0xff, v0
	v_mul_u32_u24_e32 v0, 12, v93
	v_lshlrev_b32_e32 v16, 3, v0
	s_load_dwordx4 s[8:11], s[2:3], 0x0
	s_waitcnt lgkmcnt(0)
	s_barrier
	global_load_dwordx4 v[36:39], v16, s[6:7]
	global_load_dwordx4 v[24:27], v16, s[6:7] offset:16
	global_load_dwordx4 v[12:15], v16, s[6:7] offset:32
	;; [unrolled: 1-line block ×5, first 2 shown]
	v_add_u32_e32 v20, 0x800, v92
	v_add_u32_e32 v28, 0x1000, v92
	;; [unrolled: 1-line block ×3, first 2 shown]
	ds_read2_b64 v[16:19], v92 offset1:153
	ds_read_b64 v[44:45], v92 offset:14688
	v_add_u32_e32 v46, 0x2e00, v92
	ds_read2_b64 v[20:23], v20 offset0:50 offset1:203
	ds_read2_b64 v[28:31], v28 offset0:100 offset1:253
	;; [unrolled: 1-line block ×4, first 2 shown]
	s_mov_b32 s20, 0xbeedf032
	s_mov_b32 s0, 0x3f62ad3f
	;; [unrolled: 1-line block ×15, first 2 shown]
	v_mul_u32_u24_e32 v47, 0xdd, v47
	v_add_lshl_u32 v93, v47, v93, 3
	s_mov_b32 s44, 0x3f52af12
	s_waitcnt vmcnt(5) lgkmcnt(5)
	v_pk_mul_f32 v[48:49], v[18:19], v[36:37] op_sel:[0,1]
	v_mov_b32_e32 v50, v39
	s_waitcnt vmcnt(4) lgkmcnt(3)
	v_pk_mul_f32 v[52:53], v[22:23], v[24:25] op_sel:[0,1]
	v_mov_b32_e32 v54, v27
	s_waitcnt vmcnt(3) lgkmcnt(2)
	v_pk_mul_f32 v[56:57], v[30:31], v[12:13] op_sel:[0,1]
	s_waitcnt vmcnt(2)
	v_mov_b32_e32 v58, v11
	s_waitcnt vmcnt(1)
	v_mov_b32_e32 v64, v7
	;; [unrolled: 2-line block ×3, first 2 shown]
	s_waitcnt lgkmcnt(1)
	v_pk_mul_f32 v[62:63], v[34:35], v[4:5] op_sel:[0,1]
	s_waitcnt lgkmcnt(0)
	v_pk_mul_f32 v[66:67], v[42:43], v[0:1] op_sel:[0,1]
	v_pk_fma_f32 v[70:71], v[18:19], v[36:37], v[48:49] op_sel:[0,0,1] op_sel_hi:[1,1,0] neg_lo:[0,0,1] neg_hi:[0,0,1]
	v_pk_fma_f32 v[18:19], v[18:19], v[36:37], v[48:49] op_sel:[0,0,1] op_sel_hi:[1,0,0]
	v_pk_mul_f32 v[48:49], v[20:21], v[50:51] op_sel_hi:[1,0]
	v_pk_fma_f32 v[72:73], v[22:23], v[24:25], v[52:53] op_sel:[0,0,1] op_sel_hi:[1,1,0] neg_lo:[0,0,1] neg_hi:[0,0,1]
	v_pk_fma_f32 v[22:23], v[22:23], v[24:25], v[52:53] op_sel:[0,0,1] op_sel_hi:[1,0,0]
	v_pk_mul_f32 v[50:51], v[28:29], v[54:55] op_sel_hi:[1,0]
	;; [unrolled: 3-line block ×3, first 2 shown]
	v_pk_mul_f32 v[58:59], v[40:41], v[64:65] op_sel_hi:[1,0]
	v_pk_mul_f32 v[64:65], v[44:45], v[68:69] op_sel_hi:[1,0]
	v_pk_fma_f32 v[56:57], v[34:35], v[4:5], v[62:63] op_sel:[0,0,1] op_sel_hi:[1,1,0] neg_lo:[0,0,1] neg_hi:[0,0,1]
	v_pk_fma_f32 v[34:35], v[34:35], v[4:5], v[62:63] op_sel:[0,0,1] op_sel_hi:[1,0,0]
	v_pk_fma_f32 v[62:63], v[42:43], v[0:1], v[66:67] op_sel:[0,0,1] op_sel_hi:[1,1,0] neg_lo:[0,0,1] neg_hi:[0,0,1]
	v_pk_fma_f32 v[42:43], v[42:43], v[0:1], v[66:67] op_sel:[0,0,1] op_sel_hi:[1,0,0]
	v_mov_b32_e32 v71, v19
	v_pk_fma_f32 v[66:67], v[20:21], v[38:39], v[48:49] op_sel:[0,0,1] op_sel_hi:[1,1,0] neg_lo:[0,0,1] neg_hi:[0,0,1]
	v_pk_fma_f32 v[18:19], v[20:21], v[38:39], v[48:49] op_sel:[0,0,1] op_sel_hi:[1,0,0]
	v_mov_b32_e32 v73, v23
	;; [unrolled: 3-line block ×3, first 2 shown]
	v_pk_fma_f32 v[74:75], v[32:33], v[10:11], v[54:55] op_sel:[0,0,1] op_sel_hi:[1,1,0] neg_lo:[0,0,1] neg_hi:[0,0,1]
	v_pk_fma_f32 v[22:23], v[32:33], v[10:11], v[54:55] op_sel:[0,0,1] op_sel_hi:[1,0,0]
	v_pk_fma_f32 v[54:55], v[40:41], v[6:7], v[58:59] op_sel:[0,0,1] op_sel_hi:[1,1,0] neg_lo:[0,0,1] neg_hi:[0,0,1]
	v_pk_fma_f32 v[28:29], v[40:41], v[6:7], v[58:59] op_sel:[0,0,1] op_sel_hi:[1,0,0]
	;; [unrolled: 2-line block ×3, first 2 shown]
	v_mov_b32_e32 v63, v43
	v_mov_b32_e32 v59, v31
	;; [unrolled: 1-line block ×3, first 2 shown]
	v_pk_add_f32 v[32:33], v[70:71], v[58:59] neg_lo:[0,1] neg_hi:[0,1]
	v_mov_b32_e32 v57, v35
	v_mov_b32_e32 v55, v29
	v_pk_add_f32 v[30:31], v[70:71], v[58:59]
	v_pk_add_f32 v[28:29], v[66:67], v[62:63] neg_lo:[0,1] neg_hi:[0,1]
	v_pk_mul_f32 v[34:35], v[32:33], s[20:21] op_sel:[1,0] op_sel_hi:[0,0]
	v_mov_b32_e32 v75, v23
	v_pk_add_f32 v[64:65], v[16:17], v[70:71]
	v_pk_add_f32 v[22:23], v[66:67], v[62:63]
	v_pk_mul_f32 v[40:41], v[28:29], s[18:19] op_sel:[1,0] op_sel_hi:[0,0]
	v_pk_fma_f32 v[70:71], v[30:31], s[0:1], v[34:35] op_sel_hi:[1,0,1]
	v_pk_fma_f32 v[76:77], v[30:31], s[0:1], v[34:35] op_sel_hi:[1,0,1] neg_lo:[0,0,1] neg_hi:[0,0,1]
	v_pk_fma_f32 v[84:85], v[22:23], s[2:3], v[40:41] op_sel_hi:[1,0,1]
	v_pk_fma_f32 v[88:89], v[22:23], s[2:3], v[40:41] op_sel_hi:[1,0,1] neg_lo:[0,0,1] neg_hi:[0,0,1]
	v_mov_b32_e32 v34, v70
	v_mov_b32_e32 v35, v77
	;; [unrolled: 1-line block ×3, first 2 shown]
	v_pk_add_f32 v[20:21], v[72:73], v[54:55] neg_lo:[0,1] neg_hi:[0,1]
	v_mov_b32_e32 v40, v84
	v_mov_b32_e32 v41, v89
	v_pk_add_f32 v[34:35], v[16:17], v[34:35]
	v_pk_add_f32 v[18:19], v[72:73], v[54:55]
	;; [unrolled: 1-line block ×3, first 2 shown]
	v_pk_mul_f32 v[40:41], v[20:21], s[24:25] op_sel:[1,0] op_sel_hi:[0,0]
	v_pk_fma_f32 v[90:91], v[18:19], s[16:17], v[40:41] op_sel_hi:[1,0,1]
	v_pk_fma_f32 v[94:95], v[18:19], s[16:17], v[40:41] op_sel_hi:[1,0,1] neg_lo:[0,0,1] neg_hi:[0,0,1]
	v_mov_b32_e32 v40, v90
	v_mov_b32_e32 v41, v95
	v_pk_add_f32 v[42:43], v[40:41], v[34:35]
	v_pk_add_f32 v[40:41], v[68:69], v[56:57] neg_lo:[0,1] neg_hi:[0,1]
	v_pk_add_f32 v[34:35], v[68:69], v[56:57]
	s_mov_b32 s20, 0xbeb58ec6
	v_pk_mul_f32 v[44:45], v[40:41], s[22:23] op_sel:[1,0] op_sel_hi:[0,0]
	v_pk_fma_f32 v[96:97], v[34:35], s[20:21], v[44:45] op_sel_hi:[1,0,1]
	v_pk_fma_f32 v[102:103], v[34:35], s[20:21], v[44:45] op_sel_hi:[1,0,1] neg_lo:[0,0,1] neg_hi:[0,0,1]
	v_mov_b32_e32 v44, v96
	v_mov_b32_e32 v45, v103
	v_pk_add_f32 v[48:49], v[44:45], v[42:43]
	v_pk_add_f32 v[44:45], v[52:53], v[74:75] neg_lo:[0,1] neg_hi:[0,1]
	v_pk_add_f32 v[42:43], v[52:53], v[74:75]
	v_pk_mul_f32 v[50:51], v[44:45], s[28:29] op_sel:[1,0] op_sel_hi:[0,0]
	v_pk_fma_f32 v[104:105], v[42:43], s[26:27], v[50:51] op_sel_hi:[1,0,1]
	v_pk_fma_f32 v[106:107], v[42:43], s[26:27], v[50:51] op_sel_hi:[1,0,1] neg_lo:[0,0,1] neg_hi:[0,0,1]
	v_mov_b32_e32 v50, v104
	v_mov_b32_e32 v51, v107
	v_pk_add_f32 v[78:79], v[50:51], v[48:49]
	v_pk_mul_f32 v[48:49], v[44:45], s[36:37] op_sel:[1,0] op_sel_hi:[0,0]
	v_pk_fma_f32 v[108:109], v[42:43], s[30:31], v[48:49] op_sel_hi:[1,0,1] neg_lo:[0,0,1] neg_hi:[0,0,1]
	v_pk_fma_f32 v[110:111], v[42:43], s[30:31], v[48:49] op_sel_hi:[1,0,1]
	v_pk_mul_f32 v[48:49], v[32:33], s[18:19] op_sel:[1,0] op_sel_hi:[0,0]
	v_pk_fma_f32 v[114:115], v[30:31], s[2:3], v[48:49] op_sel_hi:[1,0,1]
	v_pk_fma_f32 v[116:117], v[30:31], s[2:3], v[48:49] op_sel_hi:[1,0,1] neg_lo:[0,0,1] neg_hi:[0,0,1]
	v_pk_mul_f32 v[50:51], v[28:29], s[22:23] op_sel:[1,0] op_sel_hi:[0,0]
	v_mov_b32_e32 v48, v114
	v_mov_b32_e32 v49, v117
	v_pk_fma_f32 v[118:119], v[22:23], s[20:21], v[50:51] op_sel_hi:[1,0,1]
	v_pk_fma_f32 v[120:121], v[22:23], s[20:21], v[50:51] op_sel_hi:[1,0,1] neg_lo:[0,0,1] neg_hi:[0,0,1]
	v_pk_add_f32 v[48:49], v[16:17], v[48:49]
	v_mov_b32_e32 v50, v118
	v_mov_b32_e32 v51, v121
	v_pk_add_f32 v[48:49], v[50:51], v[48:49]
	v_pk_mul_f32 v[50:51], v[20:21], s[38:39] op_sel:[1,0] op_sel_hi:[0,0]
	v_pk_fma_f32 v[122:123], v[18:19], s[30:31], v[50:51] op_sel_hi:[1,0,1]
	v_pk_fma_f32 v[124:125], v[18:19], s[30:31], v[50:51] op_sel_hi:[1,0,1] neg_lo:[0,0,1] neg_hi:[0,0,1]
	v_mov_b32_e32 v50, v122
	v_mov_b32_e32 v51, v125
	v_pk_add_f32 v[48:49], v[50:51], v[48:49]
	v_pk_mul_f32 v[50:51], v[40:41], s[42:43] op_sel:[1,0] op_sel_hi:[0,0]
	v_pk_fma_f32 v[126:127], v[34:35], s[26:27], v[50:51] op_sel_hi:[1,0,1]
	v_pk_fma_f32 v[128:129], v[34:35], s[26:27], v[50:51] op_sel_hi:[1,0,1] neg_lo:[0,0,1] neg_hi:[0,0,1]
	;; [unrolled: 6-line block ×4, first 2 shown]
	v_pk_mul_f32 v[50:51], v[28:29], s[38:39] op_sel:[1,0] op_sel_hi:[0,0]
	v_mov_b32_e32 v48, v134
	v_mov_b32_e32 v49, v137
	v_pk_fma_f32 v[138:139], v[22:23], s[30:31], v[50:51] op_sel_hi:[1,0,1]
	v_pk_fma_f32 v[140:141], v[22:23], s[30:31], v[50:51] op_sel_hi:[1,0,1] neg_lo:[0,0,1] neg_hi:[0,0,1]
	v_pk_add_f32 v[48:49], v[16:17], v[48:49]
	v_mov_b32_e32 v50, v138
	v_mov_b32_e32 v51, v141
	v_pk_add_f32 v[48:49], v[50:51], v[48:49]
	v_pk_mul_f32 v[50:51], v[20:21], s[40:41] op_sel:[1,0] op_sel_hi:[0,0]
	v_pk_fma_f32 v[142:143], v[18:19], s[20:21], v[50:51] op_sel_hi:[1,0,1]
	v_pk_fma_f32 v[144:145], v[18:19], s[20:21], v[50:51] op_sel_hi:[1,0,1] neg_lo:[0,0,1] neg_hi:[0,0,1]
	v_mov_b32_e32 v50, v142
	v_mov_b32_e32 v51, v145
	s_mov_b32 s40, 0x3eedf032
	v_pk_add_f32 v[48:49], v[50:51], v[48:49]
	v_pk_mul_f32 v[50:51], v[40:41], s[40:41] op_sel:[1,0] op_sel_hi:[0,0]
	v_pk_fma_f32 v[146:147], v[34:35], s[0:1], v[50:51] op_sel_hi:[1,0,1]
	v_pk_fma_f32 v[148:149], v[34:35], s[0:1], v[50:51] op_sel_hi:[1,0,1] neg_lo:[0,0,1] neg_hi:[0,0,1]
	v_mov_b32_e32 v50, v146
	v_mov_b32_e32 v51, v149
	v_pk_add_f32 v[80:81], v[50:51], v[48:49]
	v_pk_mul_f32 v[48:49], v[44:45], s[18:19] op_sel:[1,0] op_sel_hi:[0,0]
	v_pk_fma_f32 v[150:151], v[42:43], s[2:3], v[48:49] op_sel_hi:[1,0,1]
	v_pk_fma_f32 v[152:153], v[42:43], s[2:3], v[48:49] op_sel_hi:[1,0,1] neg_lo:[0,0,1] neg_hi:[0,0,1]
	v_add_u32_e32 v48, 0x1c00, v92
	ds_read2_b64 v[48:51], v48 offset0:22 offset1:175
	v_mov_b32_e32 v154, v150
	v_mov_b32_e32 v155, v153
	;; [unrolled: 1-line block ×3, first 2 shown]
	v_pk_add_f32 v[154:155], v[154:155], v[80:81]
	s_waitcnt lgkmcnt(0)
	v_pk_mul_f32 v[80:81], v[48:49], v[70:71] op_sel_hi:[1,0]
	v_pk_add_f32 v[64:65], v[64:65], v[66:67]
	v_pk_fma_f32 v[156:157], v[48:49], v[14:15], v[80:81] op_sel:[0,0,1] op_sel_hi:[1,1,0] neg_lo:[0,0,1] neg_hi:[0,0,1]
	v_pk_fma_f32 v[48:49], v[48:49], v[14:15], v[80:81] op_sel:[0,0,1] op_sel_hi:[1,0,0]
	v_pk_add_f32 v[64:65], v[64:65], v[72:73]
	v_mov_b32_e32 v157, v49
	v_pk_mul_f32 v[48:49], v[50:51], v[8:9] op_sel:[0,1]
	v_pk_add_f32 v[64:65], v[64:65], v[68:69]
	v_pk_fma_f32 v[80:81], v[50:51], v[8:9], v[48:49] op_sel:[0,0,1] op_sel_hi:[1,1,0] neg_lo:[0,0,1] neg_hi:[0,0,1]
	v_pk_fma_f32 v[48:49], v[50:51], v[8:9], v[48:49] op_sel:[0,0,1] op_sel_hi:[1,0,0]
	v_pk_add_f32 v[52:53], v[64:65], v[52:53]
	v_mov_b32_e32 v81, v49
	v_pk_add_f32 v[52:53], v[52:53], v[156:157]
	v_mov_b32_e32 v77, v71
	v_pk_add_f32 v[52:53], v[52:53], v[80:81]
	v_pk_add_f32 v[70:71], v[16:17], v[76:77]
	;; [unrolled: 1-line block ×3, first 2 shown]
	v_mov_b32_e32 v89, v85
	v_pk_add_f32 v[50:51], v[156:157], v[80:81] neg_lo:[0,1] neg_hi:[0,1]
	v_pk_add_f32 v[52:53], v[52:53], v[56:57]
	v_pk_add_f32 v[70:71], v[88:89], v[70:71]
	v_mov_b32_e32 v95, v91
	v_pk_add_f32 v[48:49], v[156:157], v[80:81]
	v_pk_add_f32 v[52:53], v[52:53], v[54:55]
	v_pk_mul_f32 v[54:55], v[50:51], s[38:39] op_sel:[1,0] op_sel_hi:[0,0]
	v_pk_add_f32 v[70:71], v[94:95], v[70:71]
	v_mov_b32_e32 v103, v97
	v_pk_add_f32 v[52:53], v[52:53], v[62:63]
	v_pk_fma_f32 v[56:57], v[48:49], s[30:31], v[54:55] op_sel_hi:[1,0,1]
	v_pk_fma_f32 v[54:55], v[48:49], s[30:31], v[54:55] op_sel_hi:[1,0,1] neg_lo:[0,0,1] neg_hi:[0,0,1]
	v_pk_add_f32 v[70:71], v[102:103], v[70:71]
	v_mov_b32_e32 v107, v105
	v_pk_add_f32 v[52:53], v[52:53], v[58:59]
	v_mov_b32_e32 v58, v56
	v_mov_b32_e32 v59, v55
	v_pk_add_f32 v[70:71], v[106:107], v[70:71]
	v_mov_b32_e32 v55, v57
	v_pk_add_f32 v[80:81], v[58:59], v[78:79]
	v_pk_mul_f32 v[58:59], v[50:51], s[40:41] op_sel:[1,0] op_sel_hi:[0,0]
	v_pk_add_f32 v[54:55], v[54:55], v[70:71]
	v_mov_b32_e32 v117, v115
	v_mov_b32_e32 v137, v135
	v_pk_fma_f32 v[62:63], v[48:49], s[0:1], v[58:59] op_sel_hi:[1,0,1]
	v_pk_fma_f32 v[58:59], v[48:49], s[0:1], v[58:59] op_sel_hi:[1,0,1] neg_lo:[0,0,1] neg_hi:[0,0,1]
	s_barrier
	ds_write2_b64 v93, v[52:53], v[54:55] offset1:17
	v_pk_add_f32 v[52:53], v[16:17], v[116:117]
	v_mov_b32_e32 v121, v119
	v_pk_add_f32 v[54:55], v[16:17], v[136:137]
	v_mov_b32_e32 v141, v139
	v_mov_b32_e32 v64, v62
	;; [unrolled: 1-line block ×3, first 2 shown]
	v_pk_add_f32 v[52:53], v[120:121], v[52:53]
	v_mov_b32_e32 v125, v123
	v_pk_add_f32 v[54:55], v[140:141], v[54:55]
	v_mov_b32_e32 v145, v143
	v_pk_add_f32 v[78:79], v[64:65], v[86:87]
	v_pk_mul_f32 v[64:65], v[50:51], s[28:29] op_sel:[1,0] op_sel_hi:[0,0]
	v_pk_add_f32 v[52:53], v[124:125], v[52:53]
	v_mov_b32_e32 v129, v127
	v_pk_add_f32 v[54:55], v[144:145], v[54:55]
	v_mov_b32_e32 v149, v147
	v_pk_fma_f32 v[66:67], v[48:49], s[26:27], v[64:65] op_sel_hi:[1,0,1]
	v_pk_fma_f32 v[64:65], v[48:49], s[26:27], v[64:65] op_sel_hi:[1,0,1] neg_lo:[0,0,1] neg_hi:[0,0,1]
	v_pk_add_f32 v[52:53], v[128:129], v[52:53]
	v_mov_b32_e32 v133, v131
	v_pk_add_f32 v[54:55], v[148:149], v[54:55]
	v_mov_b32_e32 v153, v151
	v_mov_b32_e32 v69, v65
	v_pk_add_f32 v[52:53], v[132:133], v[52:53]
	v_mov_b32_e32 v59, v63
	v_pk_add_f32 v[54:55], v[152:153], v[54:55]
	;; [unrolled: 2-line block ×3, first 2 shown]
	v_pk_add_f32 v[54:55], v[64:65], v[54:55]
	ds_write2_b64 v93, v[52:53], v[54:55] offset0:34 offset1:51
	v_pk_mul_f32 v[52:53], v[32:33], s[22:23] op_sel:[1,0] op_sel_hi:[0,0]
	v_pk_fma_f32 v[54:55], v[30:31], s[20:21], v[52:53] op_sel_hi:[1,0,1] neg_lo:[0,0,1] neg_hi:[0,0,1]
	v_pk_fma_f32 v[52:53], v[30:31], s[20:21], v[52:53] op_sel_hi:[1,0,1]
	v_pk_mul_f32 v[58:59], v[28:29], s[42:43] op_sel:[1,0] op_sel_hi:[0,0]
	v_mov_b32_e32 v57, v53
	v_pk_fma_f32 v[62:63], v[22:23], s[26:27], v[58:59] op_sel_hi:[1,0,1] neg_lo:[0,0,1] neg_hi:[0,0,1]
	v_pk_fma_f32 v[58:59], v[22:23], s[26:27], v[58:59] op_sel_hi:[1,0,1]
	v_mov_b32_e32 v53, v55
	v_mov_b32_e32 v56, v54
	;; [unrolled: 1-line block ×3, first 2 shown]
	v_pk_add_f32 v[52:53], v[16:17], v[52:53]
	v_mov_b32_e32 v59, v63
	v_pk_mul_f32 v[54:55], v[20:21], s[40:41] op_sel:[1,0] op_sel_hi:[0,0]
	v_pk_add_f32 v[56:57], v[16:17], v[56:57]
	v_mov_b32_e32 v64, v62
	v_pk_add_f32 v[52:53], v[58:59], v[52:53]
	v_pk_fma_f32 v[58:59], v[18:19], s[0:1], v[54:55] op_sel_hi:[1,0,1] neg_lo:[0,0,1] neg_hi:[0,0,1]
	v_pk_fma_f32 v[54:55], v[18:19], s[0:1], v[54:55] op_sel_hi:[1,0,1]
	v_pk_add_f32 v[56:57], v[64:65], v[56:57]
	v_mov_b32_e32 v62, v58
	v_mov_b32_e32 v63, v55
	v_pk_add_f32 v[56:57], v[62:63], v[56:57]
	v_pk_mul_f32 v[62:63], v[40:41], s[24:25] op_sel:[1,0] op_sel_hi:[0,0]
	v_mov_b32_e32 v68, v66
	v_pk_fma_f32 v[64:65], v[34:35], s[16:17], v[62:63] op_sel_hi:[1,0,1] neg_lo:[0,0,1] neg_hi:[0,0,1]
	v_pk_fma_f32 v[62:63], v[34:35], s[16:17], v[62:63] op_sel_hi:[1,0,1]
	v_mov_b32_e32 v55, v59
	v_pk_add_f32 v[86:87], v[68:69], v[154:155]
	v_pk_mul_f32 v[68:69], v[50:51], s[44:45] op_sel:[1,0] op_sel_hi:[0,0]
	v_mov_b32_e32 v67, v63
	v_pk_add_f32 v[52:53], v[54:55], v[52:53]
	v_mov_b32_e32 v63, v65
	v_mov_b32_e32 v112, v110
	;; [unrolled: 1-line block ×3, first 2 shown]
	v_pk_fma_f32 v[72:73], v[48:49], s[2:3], v[68:69] op_sel_hi:[1,0,1] neg_lo:[0,0,1] neg_hi:[0,0,1]
	v_pk_fma_f32 v[68:69], v[48:49], s[2:3], v[68:69] op_sel_hi:[1,0,1]
	v_pk_add_f32 v[52:53], v[62:63], v[52:53]
	v_mov_b32_e32 v74, v68
	v_mov_b32_e32 v75, v73
	;; [unrolled: 1-line block ×3, first 2 shown]
	v_pk_add_f32 v[52:53], v[112:113], v[52:53]
	v_pk_add_f32 v[56:57], v[66:67], v[56:57]
	v_mov_b32_e32 v109, v111
	v_pk_add_f32 v[84:85], v[74:75], v[52:53]
	v_pk_mul_f32 v[52:53], v[32:33], s[28:29] op_sel:[1,0] op_sel_hi:[0,0]
	v_pk_add_f32 v[54:55], v[108:109], v[56:57]
	v_pk_fma_f32 v[56:57], v[30:31], s[26:27], v[52:53] op_sel_hi:[1,0,1] neg_lo:[0,0,1] neg_hi:[0,0,1]
	v_pk_fma_f32 v[52:53], v[30:31], s[26:27], v[52:53] op_sel_hi:[1,0,1]
	v_pk_mul_f32 v[62:63], v[28:29], s[34:35] op_sel:[1,0] op_sel_hi:[0,0]
	v_mov_b32_e32 v58, v56
	v_mov_b32_e32 v59, v53
	v_pk_fma_f32 v[64:65], v[22:23], s[16:17], v[62:63] op_sel_hi:[1,0,1] neg_lo:[0,0,1] neg_hi:[0,0,1]
	v_pk_fma_f32 v[62:63], v[22:23], s[16:17], v[62:63] op_sel_hi:[1,0,1]
	v_pk_add_f32 v[58:59], v[16:17], v[58:59]
	v_mov_b32_e32 v66, v64
	v_mov_b32_e32 v67, v63
	v_pk_add_f32 v[58:59], v[66:67], v[58:59]
	v_pk_mul_f32 v[66:67], v[20:21], s[18:19] op_sel:[1,0] op_sel_hi:[0,0]
	v_mov_b32_e32 v73, v69
	v_pk_fma_f32 v[68:69], v[18:19], s[2:3], v[66:67] op_sel_hi:[1,0,1] neg_lo:[0,0,1] neg_hi:[0,0,1]
	v_pk_fma_f32 v[66:67], v[18:19], s[2:3], v[66:67] op_sel_hi:[1,0,1]
	v_mov_b32_e32 v70, v68
	v_mov_b32_e32 v71, v67
	v_pk_add_f32 v[58:59], v[70:71], v[58:59]
	v_pk_mul_f32 v[70:71], v[40:41], s[36:37] op_sel:[1,0] op_sel_hi:[0,0]
	v_pk_add_f32 v[54:55], v[72:73], v[54:55]
	v_pk_fma_f32 v[72:73], v[34:35], s[30:31], v[70:71] op_sel_hi:[1,0,1] neg_lo:[0,0,1] neg_hi:[0,0,1]
	v_pk_fma_f32 v[70:71], v[34:35], s[30:31], v[70:71] op_sel_hi:[1,0,1]
	v_mov_b32_e32 v74, v72
	v_mov_b32_e32 v75, v71
	v_pk_add_f32 v[58:59], v[74:75], v[58:59]
	v_pk_mul_f32 v[74:75], v[44:45], s[40:41] op_sel:[1,0] op_sel_hi:[0,0]
	v_pk_fma_f32 v[76:77], v[42:43], s[0:1], v[74:75] op_sel_hi:[1,0,1] neg_lo:[0,0,1] neg_hi:[0,0,1]
	v_pk_fma_f32 v[74:75], v[42:43], s[0:1], v[74:75] op_sel_hi:[1,0,1]
	v_mov_b32_e32 v88, v76
	v_mov_b32_e32 v89, v75
	v_pk_add_f32 v[58:59], v[88:89], v[58:59]
	v_pk_mul_f32 v[88:89], v[50:51], s[22:23] op_sel:[1,0] op_sel_hi:[0,0]
	;; [unrolled: 6-line block ×3, first 2 shown]
	ds_write2_b64 v93, v[54:55], v[58:59] offset0:68 offset1:85
	v_pk_fma_f32 v[54:55], v[30:31], s[30:31], v[32:33] op_sel_hi:[1,0,1] neg_lo:[0,0,1] neg_hi:[0,0,1]
	v_pk_fma_f32 v[30:31], v[30:31], s[30:31], v[32:33] op_sel_hi:[1,0,1]
	v_pk_mul_f32 v[28:29], v[28:29], s[40:41] op_sel:[1,0] op_sel_hi:[0,0]
	v_mov_b32_e32 v32, v54
	v_mov_b32_e32 v33, v31
	v_pk_fma_f32 v[58:59], v[22:23], s[0:1], v[28:29] op_sel_hi:[1,0,1] neg_lo:[0,0,1] neg_hi:[0,0,1]
	v_pk_fma_f32 v[22:23], v[22:23], s[0:1], v[28:29] op_sel_hi:[1,0,1]
	v_pk_add_f32 v[32:33], v[16:17], v[32:33]
	v_mov_b32_e32 v28, v58
	v_mov_b32_e32 v29, v23
	v_pk_mul_f32 v[20:21], v[20:21], s[28:29] op_sel:[1,0] op_sel_hi:[0,0]
	v_pk_add_f32 v[28:29], v[28:29], v[32:33]
	v_pk_fma_f32 v[32:33], v[18:19], s[26:27], v[20:21] op_sel_hi:[1,0,1] neg_lo:[0,0,1] neg_hi:[0,0,1]
	v_pk_fma_f32 v[18:19], v[18:19], s[26:27], v[20:21] op_sel_hi:[1,0,1]
	v_mov_b32_e32 v20, v32
	v_mov_b32_e32 v21, v19
	v_pk_add_f32 v[20:21], v[20:21], v[28:29]
	v_pk_mul_f32 v[28:29], v[40:41], s[44:45] op_sel:[1,0] op_sel_hi:[0,0]
	v_pk_fma_f32 v[40:41], v[34:35], s[2:3], v[28:29] op_sel_hi:[1,0,1] neg_lo:[0,0,1] neg_hi:[0,0,1]
	v_pk_fma_f32 v[28:29], v[34:35], s[2:3], v[28:29] op_sel_hi:[1,0,1]
	v_mov_b32_e32 v34, v40
	v_mov_b32_e32 v35, v29
	v_pk_add_f32 v[20:21], v[34:35], v[20:21]
	v_pk_mul_f32 v[34:35], v[44:45], s[22:23] op_sel:[1,0] op_sel_hi:[0,0]
	v_mov_b32_e32 v31, v55
	v_mov_b32_e32 v53, v57
	v_pk_fma_f32 v[44:45], v[42:43], s[20:21], v[34:35] op_sel_hi:[1,0,1] neg_lo:[0,0,1] neg_hi:[0,0,1]
	v_pk_fma_f32 v[34:35], v[42:43], s[20:21], v[34:35] op_sel_hi:[1,0,1]
	v_pk_add_f32 v[30:31], v[16:17], v[30:31]
	v_mov_b32_e32 v23, v59
	v_pk_add_f32 v[16:17], v[16:17], v[52:53]
	v_mov_b32_e32 v63, v65
	v_mov_b32_e32 v42, v44
	;; [unrolled: 1-line block ×3, first 2 shown]
	v_pk_add_f32 v[22:23], v[22:23], v[30:31]
	v_mov_b32_e32 v19, v33
	v_pk_add_f32 v[16:17], v[62:63], v[16:17]
	v_mov_b32_e32 v67, v69
	v_pk_add_f32 v[20:21], v[42:43], v[20:21]
	v_pk_mul_f32 v[42:43], v[50:51], s[34:35] op_sel:[1,0] op_sel_hi:[0,0]
	v_pk_add_f32 v[18:19], v[18:19], v[22:23]
	v_mov_b32_e32 v29, v41
	v_pk_add_f32 v[16:17], v[66:67], v[16:17]
	v_mov_b32_e32 v71, v73
	v_pk_fma_f32 v[50:51], v[48:49], s[16:17], v[42:43] op_sel_hi:[1,0,1] neg_lo:[0,0,1] neg_hi:[0,0,1]
	v_pk_fma_f32 v[42:43], v[48:49], s[16:17], v[42:43] op_sel_hi:[1,0,1]
	v_pk_add_f32 v[18:19], v[28:29], v[18:19]
	v_mov_b32_e32 v35, v45
	v_pk_add_f32 v[16:17], v[70:71], v[16:17]
	v_mov_b32_e32 v75, v77
	v_mov_b32_e32 v48, v50
	;; [unrolled: 1-line block ×3, first 2 shown]
	v_pk_add_f32 v[18:19], v[34:35], v[18:19]
	v_mov_b32_e32 v43, v51
	v_pk_add_f32 v[16:17], v[74:75], v[16:17]
	v_mov_b32_e32 v89, v91
	v_pk_add_f32 v[20:21], v[48:49], v[20:21]
	v_pk_add_f32 v[18:19], v[42:43], v[18:19]
	;; [unrolled: 1-line block ×3, first 2 shown]
	ds_write2_b64 v93, v[20:21], v[18:19] offset0:102 offset1:119
	ds_write2_b64 v93, v[16:17], v[84:85] offset0:136 offset1:153
	ds_write2_b64 v93, v[86:87], v[78:79] offset0:170 offset1:187
	ds_write_b64 v93, v[80:81] offset:1632
	v_add_u32_e32 v17, 0xd00, v92
	v_add_u32_e32 v18, 0x1b00, v92
	;; [unrolled: 1-line block ×3, first 2 shown]
	s_waitcnt lgkmcnt(0)
	s_barrier
	ds_read2_b64 v[64:67], v92 offset1:221
	ds_read2_b64 v[88:91], v17 offset0:26 offset1:247
	ds_read2_b64 v[72:75], v18 offset0:20 offset1:241
	;; [unrolled: 1-line block ×3, first 2 shown]
	ds_read_b64 v[56:57], v92 offset:14144
	s_movk_i32 s0, 0x44
	v_cmp_gt_u16_e64 s[2:3], s0, v158
                                        ; implicit-def: $vgpr102
                                        ; implicit-def: $vgpr104
	s_and_saveexec_b64 s[0:1], s[2:3]
	s_cbranch_execz .LBB0_9
; %bb.8:
	v_add_u32_e32 v19, 0x400, v92
	ds_read2_b64 v[84:87], v19 offset0:25 offset1:246
	v_add_u32_e32 v19, 0x2000, v92
	ds_read2_b64 v[20:23], v19 offset0:13 offset1:234
	v_add_u32_e32 v19, 0x1200, v92
	ds_read2_b64 v[58:61], v46 offset0:7 offset1:228
	ds_read2_b64 v[78:81], v19 offset0:19 offset1:240
	ds_read_b64 v[102:103], v92 offset:15368
	s_waitcnt lgkmcnt(2)
	v_mov_b32_e32 v82, v58
	v_mov_b32_e32 v98, v22
	;; [unrolled: 1-line block ×6, first 2 shown]
	s_waitcnt lgkmcnt(0)
	v_mov_b32_e32 v104, v103
.LBB0_9:
	s_or_b64 exec, exec, s[0:1]
	v_accvgpr_read_b32 v23, a1
	v_accvgpr_read_b32 v22, a0
	v_lshlrev_b32_e32 v19, 6, v22
	global_load_dwordx4 v[52:55], v19, s[6:7] offset:1632
	global_load_dwordx4 v[48:51], v19, s[6:7] offset:1648
	;; [unrolled: 1-line block ×4, first 2 shown]
	s_movk_i32 s28, 0xffbc
	s_mov_b64 s[24:25], 0x99
	s_mov_b32 s29, -1
	v_lshl_add_u64 v[20:21], v[22:23], 0, s[24:25]
	v_lshl_add_u64 v[22:23], v[22:23], 0, s[28:29]
	v_cndmask_b32_e64 v21, v23, v21, s[2:3]
	v_cndmask_b32_e64 v20, v22, v20, s[2:3]
	v_lshlrev_b64 v[20:21], 6, v[20:21]
	v_lshl_add_u64 v[20:21], s[6:7], 0, v[20:21]
	global_load_dwordx4 v[114:117], v[20:21], off offset:1680
	global_load_dwordx4 v[106:109], v[20:21], off offset:1664
	;; [unrolled: 1-line block ×4, first 2 shown]
	s_mov_b32 s26, 0x3f248dbb
	s_mov_b32 s27, 0x3f7c1c5c
	;; [unrolled: 1-line block ×11, first 2 shown]
	s_waitcnt vmcnt(7) lgkmcnt(4)
	v_pk_mul_f32 v[20:21], v[66:67], v[52:53] op_sel:[0,1]
	v_mov_b32_e32 v22, v55
	s_waitcnt vmcnt(6) lgkmcnt(3)
	v_pk_mul_f32 v[28:29], v[90:91], v[48:49] op_sel:[0,1]
	s_waitcnt vmcnt(5) lgkmcnt(2)
	v_pk_mul_f32 v[32:33], v[74:75], v[44:45] op_sel:[0,1]
	;; [unrolled: 2-line block ×3, first 2 shown]
	v_mov_b32_e32 v62, v43
	v_mov_b32_e32 v30, v51
	v_pk_fma_f32 v[76:77], v[66:67], v[52:53], v[20:21] op_sel:[0,0,1] op_sel_hi:[1,1,0] neg_lo:[0,0,1] neg_hi:[0,0,1]
	v_pk_fma_f32 v[20:21], v[66:67], v[52:53], v[20:21] op_sel:[0,0,1] op_sel_hi:[1,0,0]
	v_pk_mul_f32 v[22:23], v[88:89], v[22:23] op_sel_hi:[1,0]
	v_pk_fma_f32 v[66:67], v[90:91], v[48:49], v[28:29] op_sel:[0,0,1] op_sel_hi:[1,1,0] neg_lo:[0,0,1] neg_hi:[0,0,1]
	v_pk_fma_f32 v[28:29], v[90:91], v[48:49], v[28:29] op_sel:[0,0,1] op_sel_hi:[1,0,0]
	v_pk_fma_f32 v[90:91], v[74:75], v[44:45], v[32:33] op_sel:[0,0,1] op_sel_hi:[1,1,0] neg_lo:[0,0,1] neg_hi:[0,0,1]
	v_pk_fma_f32 v[32:33], v[74:75], v[44:45], v[32:33] op_sel:[0,0,1] op_sel_hi:[1,0,0]
	v_pk_fma_f32 v[74:75], v[70:71], v[40:41], v[58:59] op_sel:[1,0,0] op_sel_hi:[0,1,1]
	v_pk_fma_f32 v[58:59], v[70:71], v[40:41], v[58:59] op_sel:[1,0,0] op_sel_hi:[0,0,1] neg_lo:[0,0,1] neg_hi:[0,0,1]
	s_waitcnt lgkmcnt(0)
	v_pk_mul_f32 v[62:63], v[56:57], v[62:63] op_sel_hi:[1,0]
	v_mov_b32_e32 v34, v47
	v_pk_mul_f32 v[30:31], v[72:73], v[30:31] op_sel_hi:[1,0]
	v_mov_b32_e32 v77, v21
	v_pk_fma_f32 v[20:21], v[88:89], v[54:55], v[22:23] op_sel:[1,0,0] op_sel_hi:[0,1,1]
	v_pk_fma_f32 v[22:23], v[88:89], v[54:55], v[22:23] op_sel:[1,0,0] op_sel_hi:[0,0,1] neg_lo:[0,0,1] neg_hi:[0,0,1]
	v_mov_b32_e32 v75, v59
	v_pk_fma_f32 v[58:59], v[56:57], v[42:43], v[62:63] op_sel:[0,0,1] op_sel_hi:[1,1,0] neg_lo:[0,0,1] neg_hi:[0,0,1]
	v_pk_fma_f32 v[56:57], v[56:57], v[42:43], v[62:63] op_sel:[0,0,1] op_sel_hi:[1,0,0]
	v_pk_mul_f32 v[34:35], v[68:69], v[34:35] op_sel_hi:[1,0]
	v_mov_b32_e32 v67, v29
	v_pk_fma_f32 v[28:29], v[72:73], v[50:51], v[30:31] op_sel:[0,0,1] op_sel_hi:[1,1,0] neg_lo:[0,0,1] neg_hi:[0,0,1]
	v_pk_fma_f32 v[30:31], v[72:73], v[50:51], v[30:31] op_sel:[0,0,1] op_sel_hi:[1,0,0]
	v_mov_b32_e32 v21, v23
	v_mov_b32_e32 v59, v57
	;; [unrolled: 1-line block ×3, first 2 shown]
	v_pk_fma_f32 v[32:33], v[68:69], v[46:47], v[34:35] op_sel:[0,0,1] op_sel_hi:[1,1,0] neg_lo:[0,0,1] neg_hi:[0,0,1]
	v_pk_fma_f32 v[34:35], v[68:69], v[46:47], v[34:35] op_sel:[0,0,1] op_sel_hi:[1,0,0]
	v_mov_b32_e32 v29, v31
	v_pk_add_f32 v[30:31], v[20:21], v[74:75]
	v_pk_add_f32 v[56:57], v[76:77], v[58:59] neg_lo:[0,1] neg_hi:[0,1]
	v_pk_add_f32 v[20:21], v[20:21], v[74:75] neg_lo:[0,1] neg_hi:[0,1]
	v_mov_b32_e32 v33, v35
	v_pk_add_f32 v[22:23], v[76:77], v[58:59]
	v_mov_b32_e32 v62, v20
	v_mov_b32_e32 v63, v56
	v_pk_add_f32 v[34:35], v[66:67], v[32:33]
	v_pk_add_f32 v[32:33], v[66:67], v[32:33] neg_lo:[0,1] neg_hi:[0,1]
	v_mov_b32_e32 v58, v57
	v_mov_b32_e32 v59, v21
	v_pk_fma_f32 v[68:69], v[22:23], s[0:1], v[64:65] op_sel_hi:[1,0,1]
	v_pk_mul_f32 v[62:63], v[62:63], s[28:29]
	v_pk_mul_f32 v[32:33], v[32:33], s[16:17] op_sel_hi:[1,0]
	v_pk_fma_f32 v[68:69], v[30:31], s[20:21], v[68:69] op_sel:[1,0,0] op_sel_hi:[0,0,1]
	v_pk_fma_f32 v[58:59], v[58:59], s[26:27], v[62:63]
	v_pk_add_f32 v[66:67], v[28:29], v[90:91] neg_lo:[0,1] neg_hi:[0,1]
	v_pk_add_f32 v[74:75], v[28:29], v[90:91]
	v_pk_fma_f32 v[62:63], v[34:35], 0.5, v[68:69] op_sel_hi:[1,0,1] neg_lo:[1,0,0] neg_hi:[1,0,0]
	v_pk_add_f32 v[58:59], v[32:33], v[58:59] op_sel:[1,0] op_sel_hi:[0,1]
	v_pk_fma_f32 v[62:63], v[74:75], s[22:23], v[62:63] op_sel_hi:[1,0,1] neg_lo:[1,0,0] neg_hi:[1,0,0]
	v_pk_fma_f32 v[68:69], v[66:67], s[18:19], v[58:59] op_sel:[1,0,0] op_sel_hi:[0,0,1]
	v_pk_mul_f32 v[70:71], v[66:67], s[26:27] op_sel:[1,0] op_sel_hi:[0,0]
	v_pk_add_f32 v[58:59], v[62:63], v[68:69]
	v_pk_add_f32 v[62:63], v[62:63], v[68:69] neg_lo:[0,1] neg_hi:[0,1]
	v_pk_fma_f32 v[70:71], v[56:57], s[24:25], v[70:71] op_sel:[1,0,0] op_sel_hi:[0,0,1] neg_lo:[0,0,1] neg_hi:[0,0,1]
	v_mov_b32_e32 v62, v58
	v_mov_b32_e32 v59, v63
	v_fmac_f32_e32 v63, 2.0, v69
	v_fmac_f32_e32 v62, -2.0, v68
	v_pk_add_f32 v[68:69], v[70:71], v[32:33] op_sel:[0,1] op_sel_hi:[1,0] neg_lo:[0,1] neg_hi:[0,1]
	s_waitcnt vmcnt(1)
	v_accvgpr_write_b32 a4, v94
	v_pk_fma_f32 v[72:73], v[20:21], s[18:19], v[68:69] op_sel_hi:[1,0,1]
	v_pk_fma_f32 v[68:69], v[74:75], s[0:1], v[64:65] op_sel_hi:[1,0,1]
	v_accvgpr_write_b32 a5, v95
	v_pk_fma_f32 v[68:69], v[22:23], s[20:21], v[68:69] op_sel_hi:[1,0,1]
	v_accvgpr_write_b32 a6, v96
	v_pk_fma_f32 v[68:69], v[34:35], 0.5, v[68:69] op_sel_hi:[1,0,1] neg_lo:[1,0,0] neg_hi:[1,0,0]
	v_accvgpr_write_b32 a7, v97
	v_pk_fma_f32 v[68:69], v[30:31], s[22:23], v[68:69] op_sel:[1,0,0] op_sel_hi:[0,0,1] neg_lo:[1,0,0] neg_hi:[1,0,0]
	v_pk_add_f32 v[70:71], v[68:69], v[72:73]
	v_pk_add_f32 v[68:69], v[68:69], v[72:73] neg_lo:[0,1] neg_hi:[0,1]
	s_waitcnt vmcnt(0)
	v_accvgpr_write_b32 a12, v110
	v_mov_b32_e32 v68, v70
	v_mov_b32_e32 v71, v69
	v_fmac_f32_e32 v68, -2.0, v72
	v_fmac_f32_e32 v69, 2.0, v73
	v_pk_add_f32 v[72:73], v[66:67], v[56:57] op_sel:[1,1] op_sel_hi:[0,0]
	v_pk_mul_f32 v[66:67], v[66:67], s[24:25] op_sel:[1,0] op_sel_hi:[0,0]
	v_pk_add_f32 v[76:77], v[72:73], v[20:21] neg_lo:[0,1] neg_hi:[0,1]
	v_pk_fma_f32 v[20:21], v[20:21], s[6:7], v[66:67] op_sel_hi:[1,0,1] neg_lo:[0,0,1] neg_hi:[0,0,1]
	v_pk_add_f32 v[72:73], v[34:35], v[64:65]
	v_pk_add_f32 v[20:21], v[32:33], v[20:21] op_sel:[1,0] op_sel_hi:[0,1]
	v_pk_add_f32 v[32:33], v[30:31], v[22:23] op_sel:[1,0] op_sel_hi:[0,1]
	v_pk_fma_f32 v[20:21], v[56:57], s[18:19], v[20:21] op_sel:[1,0,0] op_sel_hi:[0,0,1]
	v_pk_add_f32 v[56:57], v[32:33], v[74:75]
	v_pk_add_f32 v[32:33], v[34:35], v[32:33]
	v_pk_fma_f32 v[56:57], v[56:57], 0.5, v[72:73] op_sel_hi:[1,0,1] neg_lo:[1,0,0] neg_hi:[1,0,0]
	v_pk_add_f32 v[28:29], v[28:29], v[32:33]
	v_pk_fma_f32 v[72:73], v[76:77], s[16:17], v[56:57] op_sel_hi:[1,0,1]
	v_pk_add_f32 v[28:29], v[90:91], v[28:29]
	v_pk_fma_f32 v[66:67], v[76:77], s[16:17], v[56:57] op_sel_hi:[1,0,1] neg_lo:[1,0,0] neg_hi:[1,0,0]
	v_pk_add_f32 v[56:57], v[28:29], v[64:65]
	v_pk_fma_f32 v[28:29], v[30:31], s[0:1], v[64:65] op_sel:[1,0,0] op_sel_hi:[0,0,1]
	v_pk_fma_f32 v[28:29], v[74:75], s[20:21], v[28:29] op_sel_hi:[1,0,1]
	v_add_f32_e32 v31, v21, v21
	v_pk_fma_f32 v[28:29], v[34:35], 0.5, v[28:29] op_sel_hi:[1,0,1] neg_lo:[1,0,0] neg_hi:[1,0,0]
	v_pk_mul_f32 v[88:89], v[76:77], s[16:17] op_sel_hi:[1,0]
	v_pk_fma_f32 v[22:23], v[22:23], s[22:23], v[28:29] op_sel_hi:[1,0,1] neg_lo:[1,0,0] neg_hi:[1,0,0]
	v_pk_mul_f32 v[32:33], v[80:81], v[94:95] op_sel:[1,0]
	v_pk_add_f32 v[28:29], v[22:23], v[20:21]
	v_pk_add_f32 v[22:23], v[22:23], v[20:21] neg_lo:[0,1] neg_hi:[0,1]
	v_add_f32_e32 v20, v20, v20
	v_mov_b32_e32 v30, v28
	v_mov_b32_e32 v21, v23
	v_pk_add_f32 v[76:77], v[28:29], v[20:21] neg_lo:[0,1] neg_hi:[0,1]
	v_pk_add_f32 v[20:21], v[30:31], v[22:23]
	v_mov_b32_e32 v75, v23
	v_mov_b32_e32 v77, v21
	v_pk_mul_f32 v[20:21], v[86:87], v[110:111] op_sel:[1,0]
	v_pk_fma_f32 v[34:35], v[80:81], v[94:95], v[32:33] op_sel:[0,0,1] op_sel_hi:[0,1,0]
	v_pk_fma_f32 v[22:23], v[86:87], v[110:111], v[20:21] op_sel:[0,0,1] op_sel_hi:[0,1,0]
	v_pk_fma_f32 v[32:33], v[80:81], v[94:95], v[32:33] op_sel:[0,0,1] op_sel_hi:[0,1,0] neg_lo:[0,0,1] neg_hi:[0,0,1]
	v_mov_b32_e32 v22, v101
	v_mov_b32_e32 v33, v35
	v_pk_mul_f32 v[34:35], v[22:23], v[96:97] op_sel_hi:[0,1]
	v_pk_fma_f32 v[64:65], v[100:101], v[96:97], v[34:35] op_sel:[0,0,1] op_sel_hi:[0,1,0]
	v_pk_fma_f32 v[34:35], v[100:101], v[96:97], v[34:35] op_sel:[0,0,1] op_sel_hi:[0,1,0] neg_lo:[0,0,1] neg_hi:[0,0,1]
	v_mov_b32_e32 v22, v99
	v_mov_b32_e32 v74, v28
	v_pk_mul_f32 v[28:29], v[78:79], v[112:113] op_sel:[1,0]
	v_mov_b32_e32 v35, v65
	v_pk_mul_f32 v[64:65], v[22:23], v[106:107] op_sel_hi:[0,1]
	v_pk_fma_f32 v[30:31], v[78:79], v[112:113], v[28:29] op_sel:[0,0,1] op_sel_hi:[0,1,0]
	v_pk_fma_f32 v[28:29], v[78:79], v[112:113], v[28:29] op_sel:[0,0,1] op_sel_hi:[0,1,0] neg_lo:[0,0,1] neg_hi:[0,0,1]
	v_pk_fma_f32 v[78:79], v[98:99], v[106:107], v[64:65] op_sel:[0,0,1] op_sel_hi:[0,1,0]
	v_pk_fma_f32 v[64:65], v[98:99], v[106:107], v[64:65] op_sel:[0,0,1] op_sel_hi:[0,1,0] neg_lo:[0,0,1] neg_hi:[0,0,1]
	v_mov_b32_e32 v22, v83
	v_mov_b32_e32 v65, v79
	v_pk_mul_f32 v[78:79], v[22:23], v[108:109] op_sel_hi:[0,1]
	v_pk_fma_f32 v[80:81], v[82:83], v[108:109], v[78:79] op_sel:[0,0,1] op_sel_hi:[0,1,0]
	v_pk_fma_f32 v[78:79], v[82:83], v[108:109], v[78:79] op_sel:[0,0,1] op_sel_hi:[0,1,0] neg_lo:[0,0,1] neg_hi:[0,0,1]
	v_mov_b32_e32 v22, v61
	v_mov_b32_e32 v79, v81
	v_pk_mul_f32 v[80:81], v[22:23], v[114:115] op_sel_hi:[0,1]
	v_pk_fma_f32 v[82:83], v[60:61], v[114:115], v[80:81] op_sel:[0,0,1] op_sel_hi:[0,1,0]
	v_pk_fma_f32 v[60:61], v[60:61], v[114:115], v[80:81] op_sel:[0,0,1] op_sel_hi:[0,1,0] neg_lo:[0,0,1] neg_hi:[0,0,1]
	v_pk_mul_f32 v[80:81], v[104:105], v[116:117] op_sel_hi:[0,1]
	v_pk_fma_f32 v[20:21], v[86:87], v[110:111], v[20:21] op_sel:[0,0,1] op_sel_hi:[0,1,0] neg_lo:[0,0,1] neg_hi:[0,0,1]
	v_mov_b32_e32 v29, v31
	v_mov_b32_e32 v61, v83
	v_pk_fma_f32 v[86:87], v[102:103], v[116:117], v[80:81] op_sel:[0,0,1] op_sel_hi:[0,1,0]
	v_pk_fma_f32 v[80:81], v[102:103], v[116:117], v[80:81] op_sel:[0,0,1] op_sel_hi:[0,1,0] neg_lo:[0,0,1] neg_hi:[0,0,1]
	v_mov_b32_e32 v21, v23
	v_mov_b32_e32 v81, v87
	v_pk_add_f32 v[94:95], v[28:29], v[60:61]
	v_mov_b32_e32 v22, v23
	v_mov_b32_e32 v23, v28
	v_mov_b32_e32 v28, v87
	v_mov_b32_e32 v29, v60
	v_pk_add_f32 v[90:91], v[20:21], v[80:81]
	v_pk_add_f32 v[22:23], v[22:23], v[28:29] neg_lo:[0,1] neg_hi:[0,1]
	v_mov_b32_e32 v28, v31
	v_mov_b32_e32 v29, v20
	;; [unrolled: 1-line block ×4, first 2 shown]
	v_pk_add_f32 v[20:21], v[28:29], v[20:21] neg_lo:[0,1] neg_hi:[0,1]
	v_pk_add_f32 v[28:29], v[32:33], v[78:79] neg_lo:[0,1] neg_hi:[0,1]
	v_pk_mul_f32 v[30:31], v[22:23], s[26:27]
	v_pk_fma_f32 v[60:61], v[90:91], s[0:1], v[84:85] op_sel_hi:[1,0,1]
	v_pk_add_f32 v[96:97], v[32:33], v[78:79]
	v_pk_mul_f32 v[28:29], v[28:29], s[16:17] op_sel_hi:[1,0]
	v_pk_fma_f32 v[30:31], v[20:21], s[28:29], v[30:31]
	v_pk_fma_f32 v[60:61], v[94:95], s[20:21], v[60:61] op_sel_hi:[1,0,1]
	v_pk_add_f32 v[30:31], v[28:29], v[30:31] op_sel:[1,0] op_sel_hi:[0,1]
	v_pk_add_f32 v[32:33], v[34:35], v[64:65] neg_lo:[0,1] neg_hi:[0,1]
	v_pk_fma_f32 v[60:61], v[96:97], 0.5, v[60:61] op_sel_hi:[1,0,1] neg_lo:[1,0,0] neg_hi:[1,0,0]
	v_pk_add_f32 v[86:87], v[34:35], v[64:65]
	v_pk_fma_f32 v[30:31], v[32:33], s[18:19], v[30:31] op_sel:[1,0,0] op_sel_hi:[0,0,1]
	v_pk_fma_f32 v[60:61], v[86:87], s[22:23], v[60:61] op_sel_hi:[1,0,1] neg_lo:[1,0,0] neg_hi:[1,0,0]
	v_mov_b32_e32 v66, v72
	v_pk_add_f32 v[80:81], v[60:61], v[30:31] neg_lo:[0,1] neg_hi:[0,1]
	v_pk_add_f32 v[60:61], v[60:61], v[30:31]
	v_mov_b32_e32 v79, v81
	v_pk_fma_f32 v[80:81], v[30:31], 2.0, v[80:81] op_sel_hi:[1,0,1]
	v_pk_fma_f32 v[30:31], v[30:31], 2.0, v[60:61] op_sel_hi:[1,0,1] neg_lo:[1,0,0] neg_hi:[1,0,0]
	v_mov_b32_e32 v78, v60
	v_mov_b32_e32 v31, v81
	v_accvgpr_write_b32 a20, v30
	v_accvgpr_write_b32 a21, v31
	v_pk_mul_f32 v[30:31], v[32:33], s[26:27] op_sel:[1,0] op_sel_hi:[0,0]
	v_mov_b32_e32 v60, v22
	v_mov_b32_e32 v61, v21
	v_pk_fma_f32 v[30:31], v[60:61], s[24:25], v[30:31] op_sel_hi:[1,0,1] neg_lo:[0,0,1] neg_hi:[0,0,1]
	v_fmamk_f32 v80, v86, 0x3f441b7d, v84
	v_fmamk_f32 v81, v87, 0x3f441b7d, v85
	v_pk_add_f32 v[30:31], v[30:31], v[28:29] op_sel:[0,1] op_sel_hi:[1,0] neg_lo:[0,1] neg_hi:[0,1]
	v_mov_b32_e32 v21, v23
	v_pk_fma_f32 v[22:23], v[20:21], s[18:19], v[30:31] op_sel_hi:[1,0,1]
	v_pk_fma_f32 v[30:31], v[90:91], s[20:21], v[80:81] op_sel_hi:[1,0,1]
	v_mov_b32_e32 v73, v67
	v_pk_fma_f32 v[30:31], v[96:97], 0.5, v[30:31] op_sel_hi:[1,0,1] neg_lo:[1,0,0] neg_hi:[1,0,0]
	v_fmac_f32_e32 v66, -2.0, v88
	v_pk_fma_f32 v[30:31], v[94:95], s[22:23], v[30:31] op_sel_hi:[1,0,1] neg_lo:[1,0,0] neg_hi:[1,0,0]
	v_fmac_f32_e32 v67, 2.0, v89
	v_pk_add_f32 v[82:83], v[30:31], v[22:23]
	v_pk_add_f32 v[30:31], v[30:31], v[22:23] neg_lo:[0,1] neg_hi:[0,1]
	v_add_f32_e32 v22, v22, v22
	v_add_f32_e32 v89, v23, v23
	v_mov_b32_e32 v88, v82
	v_mov_b32_e32 v23, v31
	v_pk_add_f32 v[104:105], v[82:83], v[22:23] neg_lo:[0,1] neg_hi:[0,1]
	v_pk_add_f32 v[22:23], v[88:89], v[30:31]
	v_pk_add_f32 v[98:99], v[94:95], v[90:91]
	v_mov_b32_e32 v80, v82
	v_mov_b32_e32 v105, v23
	v_pk_add_f32 v[22:23], v[32:33], v[60:61] op_sel:[1,0] op_sel_hi:[0,1]
	v_pk_add_f32 v[82:83], v[84:85], v[96:97]
	v_pk_add_f32 v[88:89], v[86:87], v[98:99]
	v_pk_add_f32 v[22:23], v[22:23], v[20:21] neg_lo:[0,1] neg_hi:[0,1]
	v_pk_fma_f32 v[82:83], v[88:89], 0.5, v[82:83] op_sel_hi:[1,0,1] neg_lo:[1,0,0] neg_hi:[1,0,0]
	v_mov_b32_e32 v81, v31
	v_pk_mul_f32 v[30:31], v[22:23], s[16:17] op_sel_hi:[1,0]
	v_pk_fma_f32 v[88:89], v[22:23], s[16:17], v[82:83] op_sel_hi:[1,0,1]
	v_pk_fma_f32 v[22:23], v[22:23], s[16:17], v[82:83] op_sel_hi:[1,0,1] neg_lo:[1,0,0] neg_hi:[1,0,0]
	v_add_f32_e32 v30, v30, v30
	v_add_f32_e32 v101, v31, v31
	v_mov_b32_e32 v100, v88
	v_mov_b32_e32 v31, v23
	;; [unrolled: 1-line block ×4, first 2 shown]
	v_pk_add_f32 v[88:89], v[88:89], v[30:31] neg_lo:[0,1] neg_hi:[0,1]
	v_pk_add_f32 v[22:23], v[100:101], v[22:23]
	v_accvgpr_write_b32 a8, v106
	v_mov_b32_e32 v89, v23
	v_pk_mul_f32 v[22:23], v[32:33], s[24:25] op_sel:[1,0] op_sel_hi:[0,0]
	v_pk_fma_f32 v[20:21], v[20:21], s[6:7], v[22:23] op_sel_hi:[1,0,1] neg_lo:[0,0,1] neg_hi:[0,0,1]
	v_pk_add_f32 v[22:23], v[96:97], v[98:99]
	v_pk_add_f32 v[20:21], v[28:29], v[20:21] op_sel:[1,0] op_sel_hi:[0,1]
	v_pk_add_f32 v[22:23], v[34:35], v[22:23]
	v_pk_fma_f32 v[20:21], v[60:61], s[18:19], v[20:21] op_sel_hi:[1,0,1]
	v_pk_add_f32 v[22:23], v[64:65], v[22:23]
	v_add_f32_e32 v31, v21, v21
	v_pk_add_f32 v[64:65], v[84:85], v[22:23]
	v_pk_fma_f32 v[22:23], v[94:95], s[0:1], v[84:85] op_sel_hi:[1,0,1]
	v_accvgpr_write_b32 a16, v114
	v_pk_fma_f32 v[22:23], v[86:87], s[20:21], v[22:23] op_sel_hi:[1,0,1]
	v_accvgpr_write_b32 a13, v111
	v_pk_fma_f32 v[22:23], v[96:97], 0.5, v[22:23] op_sel_hi:[1,0,1] neg_lo:[1,0,0] neg_hi:[1,0,0]
	v_accvgpr_write_b32 a14, v112
	v_pk_fma_f32 v[22:23], v[90:91], s[22:23], v[22:23] op_sel_hi:[1,0,1] neg_lo:[1,0,0] neg_hi:[1,0,0]
	v_accvgpr_write_b32 a15, v113
	v_pk_add_f32 v[28:29], v[22:23], v[20:21]
	v_pk_add_f32 v[22:23], v[22:23], v[20:21] neg_lo:[0,1] neg_hi:[0,1]
	v_add_f32_e32 v20, v20, v20
	v_mov_b32_e32 v30, v28
	v_mov_b32_e32 v21, v23
	v_pk_add_f32 v[86:87], v[28:29], v[20:21] neg_lo:[0,1] neg_hi:[0,1]
	v_pk_add_f32 v[20:21], v[30:31], v[22:23]
	v_accvgpr_write_b32 a9, v107
	v_accvgpr_write_b32 a10, v108
	;; [unrolled: 1-line block ×6, first 2 shown]
	v_mov_b32_e32 v84, v28
	v_mov_b32_e32 v85, v23
	;; [unrolled: 1-line block ×3, first 2 shown]
	ds_write2_b64 v92, v[56:57], v[58:59] offset1:221
	ds_write2_b64 v17, v[70:71], v[72:73] offset0:26 offset1:247
	ds_write2_b64 v18, v[74:75], v[76:77] offset0:20 offset1:241
	;; [unrolled: 1-line block ×3, first 2 shown]
	ds_write_b64 v92, v[62:63] offset:14144
	s_and_saveexec_b64 s[0:1], s[2:3]
	s_cbranch_execz .LBB0_11
; %bb.10:
	v_add_u32_e32 v16, 0x400, v92
	ds_write2_b64 v16, v[64:65], v[78:79] offset0:25 offset1:246
	v_add_u32_e32 v16, 0x1200, v92
	ds_write2_b64 v16, v[80:81], v[82:83] offset0:19 offset1:240
	;; [unrolled: 2-line block ×4, first 2 shown]
	ds_write_b64 v92, a[20:21] offset:15368
.LBB0_11:
	s_or_b64 exec, exec, s[0:1]
	s_waitcnt lgkmcnt(0)
	s_barrier
	s_and_saveexec_b64 s[0:1], s[4:5]
	s_cbranch_execz .LBB0_13
; %bb.12:
	v_mov_b32_e32 v140, v93
	v_mov_b32_e32 v93, 0
	v_lshl_add_u64 v[16:17], s[12:13], 0, v[92:93]
	v_add_co_u32_e32 v18, vcc, 0x3000, v16
	s_mov_b64 s[6:7], 0x3e28
	s_nop 0
	v_addc_co_u32_e32 v19, vcc, 0, v17, vcc
	global_load_dwordx2 v[18:19], v[18:19], off offset:3624
	s_movk_i32 s16, 0x5000
	v_lshl_add_u64 v[20:21], v[16:17], 0, s[6:7]
	global_load_dwordx2 v[60:61], v[20:21], off offset:936
	global_load_dwordx2 v[90:91], v[20:21], off offset:1872
	;; [unrolled: 1-line block ×4, first 2 shown]
	v_add_co_u32_e32 v20, vcc, s16, v16
	s_movk_i32 s6, 0x6000
	s_nop 0
	v_addc_co_u32_e32 v21, vcc, 0, v17, vcc
	global_load_dwordx2 v[102:103], v[20:21], off offset:112
	global_load_dwordx2 v[106:107], v[20:21], off offset:1048
	;; [unrolled: 1-line block ×5, first 2 shown]
	v_add_co_u32_e32 v20, vcc, s6, v16
	s_movk_i32 s6, 0x7000
	s_nop 0
	v_addc_co_u32_e32 v21, vcc, 0, v17, vcc
	global_load_dwordx2 v[114:115], v[20:21], off offset:696
	global_load_dwordx2 v[116:117], v[20:21], off offset:1632
	;; [unrolled: 1-line block ×4, first 2 shown]
	v_add_co_u32_e32 v16, vcc, s6, v16
	v_add_u32_e32 v93, 0x800, v92
	s_nop 0
	v_addc_co_u32_e32 v17, vcc, 0, v17, vcc
	global_load_dwordx2 v[122:123], v[16:17], off offset:344
	ds_read_b64 v[20:21], v92
	global_load_dwordx2 v[124:125], v[16:17], off offset:1280
	global_load_dwordx2 v[126:127], v[16:17], off offset:2216
	v_add_u32_e32 v130, 0x1000, v92
	v_add_u32_e32 v131, 0x1800, v92
	;; [unrolled: 1-line block ×3, first 2 shown]
	s_waitcnt vmcnt(16) lgkmcnt(0)
	v_mul_f32_e32 v16, v21, v19
	v_mul_f32_e32 v17, v20, v19
	v_fma_f32 v16, v20, v18, -v16
	v_fmac_f32_e32 v17, v21, v18
	ds_write_b64 v92, v[16:17]
	ds_read2_b64 v[16:19], v92 offset0:117 offset1:234
	ds_read2_b64 v[20:23], v93 offset0:95 offset1:212
	;; [unrolled: 1-line block ×5, first 2 shown]
	s_waitcnt vmcnt(15) lgkmcnt(4)
	v_mul_f32_e32 v128, v17, v61
	v_mul_f32_e32 v129, v16, v61
	s_waitcnt vmcnt(14)
	v_mul_f32_e32 v133, v19, v91
	v_mul_f32_e32 v61, v18, v91
	s_waitcnt vmcnt(13) lgkmcnt(3)
	v_mul_f32_e32 v134, v21, v99
	v_mul_f32_e32 v91, v20, v99
	s_waitcnt vmcnt(12)
	v_mul_f32_e32 v135, v23, v101
	v_mul_f32_e32 v99, v22, v101
	;; [unrolled: 6-line block ×4, first 2 shown]
	v_fma_f32 v128, v16, v60, -v128
	v_fmac_f32_e32 v129, v17, v60
	v_fma_f32 v60, v18, v90, -v133
	v_fmac_f32_e32 v61, v19, v90
	;; [unrolled: 2-line block ×8, first 2 shown]
	ds_write2_b64 v92, v[128:129], v[60:61] offset0:117 offset1:234
	ds_write2_b64 v93, v[90:91], v[98:99] offset0:95 offset1:212
	;; [unrolled: 1-line block ×4, first 2 shown]
	v_add_u32_e32 v30, 0x2800, v92
	ds_read2_b64 v[16:19], v30 offset0:7 offset1:124
	s_waitcnt vmcnt(7) lgkmcnt(5)
	v_mul_f32_e32 v111, v95, v113
	v_mul_f32_e32 v21, v94, v113
	s_waitcnt vmcnt(6)
	v_mul_f32_e32 v22, v97, v115
	v_mul_f32_e32 v23, v96, v115
	v_fma_f32 v20, v94, v112, -v111
	v_fmac_f32_e32 v21, v95, v112
	v_fma_f32 v22, v96, v114, -v22
	v_fmac_f32_e32 v23, v97, v114
	ds_write2_b64 v132, v[20:21], v[22:23] offset0:29 offset1:146
	s_waitcnt vmcnt(5) lgkmcnt(1)
	v_mul_f32_e32 v20, v17, v117
	v_add_u32_e32 v31, 0x2c00, v92
	v_fma_f32 v28, v16, v116, -v20
	ds_read2_b64 v[20:23], v31 offset0:113 offset1:230
	v_mul_f32_e32 v29, v16, v117
	v_fmac_f32_e32 v29, v17, v116
	s_waitcnt vmcnt(4)
	v_mul_f32_e32 v16, v19, v119
	v_mul_f32_e32 v17, v18, v119
	v_fma_f32 v16, v18, v118, -v16
	v_fmac_f32_e32 v17, v19, v118
	ds_write2_b64 v30, v[28:29], v[16:17] offset0:7 offset1:124
	s_waitcnt vmcnt(3) lgkmcnt(1)
	v_mul_f32_e32 v16, v21, v121
	v_add_u32_e32 v30, 0x3400, v92
	v_fma_f32 v28, v20, v120, -v16
	ds_read2_b64 v[16:19], v30 offset0:91 offset1:208
	v_mul_f32_e32 v29, v20, v121
	v_fmac_f32_e32 v29, v21, v120
	s_waitcnt vmcnt(2)
	v_mul_f32_e32 v20, v23, v123
	v_mul_f32_e32 v21, v22, v123
	v_fma_f32 v20, v22, v122, -v20
	v_fmac_f32_e32 v21, v23, v122
	ds_write2_b64 v31, v[28:29], v[20:21] offset0:113 offset1:230
	s_waitcnt vmcnt(1) lgkmcnt(1)
	v_mul_f32_e32 v20, v17, v125
	v_mul_f32_e32 v21, v16, v125
	v_fma_f32 v20, v16, v124, -v20
	v_fmac_f32_e32 v21, v17, v124
	s_waitcnt vmcnt(0)
	v_mul_f32_e32 v16, v19, v127
	v_mul_f32_e32 v17, v18, v127
	v_mov_b32_e32 v93, v140
	v_fma_f32 v16, v18, v126, -v16
	v_fmac_f32_e32 v17, v19, v126
	ds_write2_b64 v30, v[20:21], v[16:17] offset0:91 offset1:208
.LBB0_13:
	s_or_b64 exec, exec, s[0:1]
	s_waitcnt lgkmcnt(0)
	s_barrier
	s_and_saveexec_b64 s[0:1], s[4:5]
	s_cbranch_execz .LBB0_15
; %bb.14:
	v_add_u32_e32 v16, 0x400, v92
	ds_read2_b64 v[70:73], v16 offset0:106 offset1:223
	v_add_u32_e32 v16, 0xc00, v92
	ds_read2_b64 v[74:77], v16 offset0:84 offset1:201
	;; [unrolled: 2-line block ×6, first 2 shown]
	v_add_u32_e32 v16, 0x3000, v92
	ds_read2_b64 v[56:59], v92 offset1:117
	ds_read2_b64 v[86:89], v16 offset0:102 offset1:219
	ds_read_b64 v[104:105], v92 offset:14976
.LBB0_15:
	s_or_b64 exec, exec, s[0:1]
	s_waitcnt lgkmcnt(1)
	v_pk_add_f32 v[16:17], v[70:71], v[88:89] neg_lo:[0,1] neg_hi:[0,1]
	v_pk_add_f32 v[124:125], v[70:71], v[88:89]
	v_mov_b32_e32 v107, v16
	v_mov_b32_e32 v106, v124
	v_mov_b32_e32 v124, v17
	v_pk_add_f32 v[16:17], v[72:73], v[86:87] neg_lo:[0,1] neg_hi:[0,1]
	v_pk_add_f32 v[126:127], v[72:73], v[86:87]
	v_mov_b32_e32 v109, v16
	v_mov_b32_e32 v108, v126
	v_mov_b32_e32 v126, v17
	;; [unrolled: 5-line block ×4, first 2 shown]
	v_pk_add_f32 v[114:115], v[66:67], v[80:81]
	v_pk_add_f32 v[16:17], v[66:67], v[80:81] neg_lo:[0,1] neg_hi:[0,1]
	v_mov_b32_e32 v18, v67
	v_mov_b32_e32 v115, v16
	;; [unrolled: 1-line block ×4, first 2 shown]
	v_pk_add_f32 v[132:133], v[16:17], v[20:21] op_sel_hi:[1,0] neg_lo:[0,1] neg_hi:[0,1]
	v_pk_add_f32 v[16:17], v[18:19], v[80:81] op_sel_hi:[0,1]
	v_mov_b32_e32 v133, v17
	v_pk_add_f32 v[16:17], v[68:69], v[78:79] neg_lo:[0,1] neg_hi:[0,1]
	v_pk_add_f32 v[136:137], v[68:69], v[78:79]
	s_waitcnt lgkmcnt(0)
	v_pk_add_f32 v[120:121], v[104:105], v[58:59]
	v_pk_add_f32 v[160:161], v[58:59], v[104:105] neg_lo:[0,1] neg_hi:[0,1]
	v_mov_b32_e32 v116, v136
	v_mov_b32_e32 v117, v16
	;; [unrolled: 1-line block ×3, first 2 shown]
	v_pk_add_f32 v[16:17], v[62:63], v[64:65] neg_lo:[0,1] neg_hi:[0,1]
	v_pk_add_f32 v[144:145], v[62:63], v[64:65]
	s_mov_b32 s40, 0xbeb8f4ab
	v_mov_b32_e32 v118, v144
	v_mov_b32_e32 v119, v16
	v_mov_b32_e32 v144, v17
	v_mov_b32_e32 v16, v161
	v_mov_b32_e32 v17, v121
	s_mov_b32 s41, 0x3f6eb680
	s_mov_b32 s54, 0xbf2c7751
	v_pk_mul_f32 v[20:21], v[16:17], s[40:41]
	v_mov_b32_e32 v172, v120
	v_mov_b32_e32 v173, v160
	s_mov_b32 s0, s41
	s_mov_b32 s1, s40
	;; [unrolled: 1-line block ×3, first 2 shown]
	v_pk_fma_f32 v[18:19], v[172:173], s[0:1], v[20:21] neg_lo:[0,0,1] neg_hi:[0,0,1]
	v_accvgpr_write_b32 a31, v21
	v_pk_fma_f32 v[158:159], v[172:173], s[0:1], v[20:21]
	v_pk_mul_f32 v[22:23], v[124:125], s[54:55]
	s_mov_b32 s16, s55
	s_mov_b32 s17, s54
	;; [unrolled: 1-line block ×3, first 2 shown]
	v_accvgpr_write_b32 a30, v20
	v_mov_b32_e32 v19, v159
	v_pk_fma_f32 v[20:21], v[106:107], s[16:17], v[22:23] neg_lo:[0,0,1] neg_hi:[0,0,1]
	v_accvgpr_write_b32 a33, v23
	v_pk_fma_f32 v[162:163], v[106:107], s[16:17], v[22:23]
	s_mov_b32 s63, 0x3ee437d1
	v_pk_add_f32 v[18:19], v[56:57], v[18:19]
	v_accvgpr_write_b32 a32, v22
	v_mov_b32_e32 v21, v163
	v_pk_mul_f32 v[22:23], v[126:127], s[62:63]
	s_mov_b32 s6, s63
	s_mov_b32 s7, s62
	s_mov_b32 s48, 0xbf7ee86f
	v_pk_add_f32 v[18:19], v[20:21], v[18:19]
	v_pk_fma_f32 v[20:21], v[108:109], s[6:7], v[22:23] neg_lo:[0,0,1] neg_hi:[0,0,1]
	v_pk_fma_f32 v[166:167], v[108:109], s[6:7], v[22:23]
	s_mov_b32 s49, 0x3dbcf732
	v_mov_b32_e32 v21, v167
	v_pk_mul_f32 v[164:165], v[128:129], s[48:49]
	s_mov_b32 s24, s49
	s_mov_b32 s25, s48
	s_mov_b32 s38, 0xbf763a35
	v_pk_add_f32 v[18:19], v[20:21], v[18:19]
	v_pk_fma_f32 v[20:21], v[110:111], s[24:25], v[164:165] neg_lo:[0,0,1] neg_hi:[0,0,1]
	v_pk_fma_f32 v[170:171], v[110:111], s[24:25], v[164:165]
	s_mov_b32 s39, 0xbe8c1d8e
	;; [unrolled: 9-line block ×4, first 2 shown]
	v_mov_b32_e32 v21, v181
	v_pk_mul_f32 v[182:183], v[136:137], s[44:45]
	s_mov_b32 s26, s45
	s_mov_b32 s27, s44
	v_pk_add_f32 v[18:19], v[20:21], v[18:19]
	v_pk_fma_f32 v[20:21], v[116:117], s[26:27], v[182:183] neg_lo:[0,0,1] neg_hi:[0,0,1]
	v_pk_fma_f32 v[184:185], v[116:117], s[26:27], v[182:183]
	v_pk_mul_f32 v[188:189], v[16:17], s[54:55]
	v_mov_b32_e32 v21, v185
	v_pk_add_f32 v[34:35], v[20:21], v[18:19]
	v_pk_fma_f32 v[18:19], v[172:173], s[16:17], v[188:189] neg_lo:[0,0,1] neg_hi:[0,0,1]
	v_pk_fma_f32 v[186:187], v[172:173], s[16:17], v[188:189]
	v_pk_mul_f32 v[192:193], v[124:125], s[48:49]
	v_mov_b32_e32 v19, v187
	v_pk_fma_f32 v[20:21], v[106:107], s[24:25], v[192:193] neg_lo:[0,0,1] neg_hi:[0,0,1]
	v_pk_fma_f32 v[190:191], v[106:107], s[24:25], v[192:193]
	s_mov_b32 s46, 0xbe3c28d5
	v_pk_add_f32 v[18:19], v[56:57], v[18:19]
	v_mov_b32_e32 v21, v191
	v_pk_mul_f32 v[196:197], v[126:127], s[42:43]
	s_mov_b32 s47, 0xbf7ba420
	v_pk_add_f32 v[18:19], v[20:21], v[18:19]
	v_pk_fma_f32 v[20:21], v[108:109], s[18:19], v[196:197] neg_lo:[0,0,1] neg_hi:[0,0,1]
	v_pk_fma_f32 v[194:195], v[108:109], s[18:19], v[196:197]
	s_mov_b32 s20, s47
	s_mov_b32 s21, s46
	v_mov_b32_e32 v21, v195
	v_pk_mul_f32 v[200:201], v[128:129], s[46:47]
	v_pk_add_f32 v[18:19], v[20:21], v[18:19]
	v_pk_fma_f32 v[20:21], v[110:111], s[20:21], v[200:201] neg_lo:[0,0,1] neg_hi:[0,0,1]
	v_pk_fma_f32 v[198:199], v[110:111], s[20:21], v[200:201]
	s_mov_b32 s68, 0x3f06c442
	s_mov_b32 s69, s45
	v_mov_b32_e32 v21, v199
	v_pk_mul_f32 v[202:203], v[130:131], s[68:69]
	s_mov_b32 s28, s45
	s_mov_b32 s29, s68
	v_pk_add_f32 v[18:19], v[20:21], v[18:19]
	v_pk_fma_f32 v[20:21], v[112:113], s[28:29], v[202:203] neg_lo:[0,0,1] neg_hi:[0,0,1]
	v_pk_fma_f32 v[204:205], v[112:113], s[28:29], v[202:203]
	s_mov_b32 s66, 0x3f763a35
	s_mov_b32 s67, s39
	v_mov_b32_e32 v21, v205
	v_pk_mul_f32 v[206:207], v[132:133], s[66:67]
	s_mov_b32 s34, s39
	s_mov_b32 s35, s66
	;; [unrolled: 9-line block ×4, first 2 shown]
	v_pk_add_f32 v[18:19], v[20:21], v[18:19]
	v_pk_fma_f32 v[20:21], v[118:119], s[52:53], v[214:215] neg_lo:[0,0,1] neg_hi:[0,0,1]
	v_pk_fma_f32 v[218:219], v[118:119], s[52:53], v[214:215]
	v_pk_mul_f32 v[220:221], v[16:17], s[62:63]
	v_mov_b32_e32 v21, v219
	v_pk_add_f32 v[18:19], v[20:21], v[18:19]
	v_pk_fma_f32 v[216:217], v[172:173], s[6:7], v[220:221]
	v_accvgpr_write_b32 a23, v19
	v_accvgpr_write_b32 a22, v18
	v_pk_fma_f32 v[18:19], v[172:173], s[6:7], v[220:221] neg_lo:[0,0,1] neg_hi:[0,0,1]
	v_pk_mul_f32 v[224:225], v[124:125], s[42:43]
	v_mov_b32_e32 v19, v217
	v_pk_fma_f32 v[20:21], v[106:107], s[18:19], v[224:225] neg_lo:[0,0,1] neg_hi:[0,0,1]
	v_pk_fma_f32 v[222:223], v[106:107], s[18:19], v[224:225]
	s_mov_b32 s36, 0x3e3c28d5
	s_mov_b32 s37, s47
	v_pk_add_f32 v[18:19], v[56:57], v[18:19]
	v_mov_b32_e32 v21, v223
	s_mov_b32 s72, s47
	s_mov_b32 s73, s36
	v_pk_mul_f32 v[228:229], v[126:127], s[36:37]
	v_pk_add_f32 v[18:19], v[20:21], v[18:19]
	v_pk_fma_f32 v[20:21], v[108:109], s[72:73], v[228:229] neg_lo:[0,0,1] neg_hi:[0,0,1]
	v_pk_fma_f32 v[226:227], v[108:109], s[72:73], v[228:229]
	v_pk_mul_f32 v[232:233], v[128:129], s[66:67]
	v_mov_b32_e32 v21, v227
	v_pk_add_f32 v[18:19], v[20:21], v[18:19]
	v_pk_fma_f32 v[20:21], v[110:111], s[34:35], v[232:233] neg_lo:[0,0,1] neg_hi:[0,0,1]
	v_pk_fma_f32 v[230:231], v[110:111], s[34:35], v[232:233]
	s_mov_b32 s64, 0x3f2c7751
	s_mov_b32 s65, s55
	v_mov_b32_e32 v21, v231
	s_mov_b32 s36, s55
	s_mov_b32 s37, s64
	v_pk_mul_f32 v[236:237], v[130:131], s[64:65]
	v_pk_add_f32 v[18:19], v[20:21], v[18:19]
	v_pk_fma_f32 v[20:21], v[112:113], s[36:37], v[236:237] neg_lo:[0,0,1] neg_hi:[0,0,1]
	v_pk_fma_f32 v[234:235], v[112:113], s[36:37], v[236:237]
	v_pk_mul_f32 v[244:245], v[132:133], s[40:41]
	v_mov_b32_e32 v21, v235
	v_pk_add_f32 v[18:19], v[20:21], v[18:19]
	v_pk_fma_f32 v[20:21], v[114:115], s[0:1], v[244:245] neg_lo:[0,0,1] neg_hi:[0,0,1]
	v_pk_fma_f32 v[242:243], v[114:115], s[0:1], v[244:245]
	v_pk_mul_f32 v[252:253], v[136:137], s[48:49]
	v_mov_b32_e32 v21, v243
	;; [unrolled: 5-line block ×4, first 2 shown]
	v_pk_add_f32 v[18:19], v[20:21], v[18:19]
	v_pk_fma_f32 v[16:17], v[172:173], s[24:25], v[240:241] neg_lo:[0,0,1] neg_hi:[0,0,1]
	v_accvgpr_write_b32 a25, v19
	v_pk_fma_f32 v[238:239], v[172:173], s[24:25], v[240:241]
	v_pk_mul_f32 v[248:249], v[124:125], s[46:47]
	v_accvgpr_write_b32 a24, v18
	v_mov_b32_e32 v17, v239
	v_pk_fma_f32 v[18:19], v[106:107], s[20:21], v[248:249] neg_lo:[0,0,1] neg_hi:[0,0,1]
	v_pk_fma_f32 v[246:247], v[106:107], s[20:21], v[248:249]
	v_pk_add_f32 v[16:17], v[56:57], v[16:17]
	v_mov_b32_e32 v19, v247
	v_pk_mul_f32 v[94:95], v[126:127], s[66:67]
	v_pk_add_f32 v[16:17], v[18:19], v[16:17]
	v_pk_fma_f32 v[18:19], v[108:109], s[34:35], v[94:95] neg_lo:[0,0,1] neg_hi:[0,0,1]
	v_pk_fma_f32 v[254:255], v[108:109], s[34:35], v[94:95]
	v_pk_mul_f32 v[90:91], v[128:129], s[58:59]
	v_mov_b32_e32 v19, v255
	v_pk_add_f32 v[16:17], v[18:19], v[16:17]
	v_pk_fma_f32 v[18:19], v[110:111], s[52:53], v[90:91] neg_lo:[0,0,1] neg_hi:[0,0,1]
	v_pk_fma_f32 v[100:101], v[110:111], s[52:53], v[90:91]
	v_pk_mul_f32 v[60:61], v[130:131], s[62:63]
	v_mov_b32_e32 v19, v101
	v_pk_add_f32 v[16:17], v[18:19], v[16:17]
	v_pk_fma_f32 v[18:19], v[112:113], s[6:7], v[60:61] neg_lo:[0,0,1] neg_hi:[0,0,1]
	v_pk_fma_f32 v[102:103], v[112:113], s[6:7], v[60:61]
	v_accvgpr_write_b32 a35, v23
	v_mov_b32_e32 v19, v103
	v_pk_add_f32 v[18:19], v[18:19], v[16:17]
	v_pk_mul_f32 v[16:17], v[132:133], s[44:45]
	s_mov_b32 s70, 0x3f4c4adb
	v_pk_fma_f32 v[20:21], v[114:115], s[26:27], v[16:17] neg_lo:[0,0,1] neg_hi:[0,0,1]
	v_pk_fma_f32 v[122:123], v[114:115], s[26:27], v[16:17]
	s_mov_b32 s71, s43
	v_mov_b32_e32 v21, v123
	v_accvgpr_write_b32 a34, v22
	v_pk_add_f32 v[22:23], v[20:21], v[18:19]
	s_mov_b32 s60, s43
	s_mov_b32 s61, s70
	v_pk_mul_f32 v[20:21], v[136:137], s[70:71]
	v_mov_b32_e32 v150, v26
	v_pk_fma_f32 v[28:29], v[116:117], s[60:61], v[20:21] neg_lo:[0,0,1] neg_hi:[0,0,1]
	v_pk_fma_f32 v[18:19], v[116:117], s[60:61], v[20:21]
	v_mov_b32_e32 v151, v26
	v_mov_b32_e32 v29, v19
	v_pk_add_f32 v[30:31], v[28:29], v[22:23]
	v_pk_mul_f32 v[28:29], v[144:145], s[64:65]
	v_mov_b32_e32 v26, v27
	v_pk_fma_f32 v[32:33], v[118:119], s[36:37], v[28:29] neg_lo:[0,0,1] neg_hi:[0,0,1]
	v_pk_fma_f32 v[22:23], v[118:119], s[36:37], v[28:29]
	v_mov_b32_e32 v148, v12
	v_mov_b32_e32 v33, v23
	v_pk_add_f32 v[30:31], v[32:33], v[30:31]
	v_pk_mul_f32 v[32:33], v[144:145], s[46:47]
	v_accvgpr_write_b32 a26, v30
	v_accvgpr_write_b32 a27, v31
	v_pk_fma_f32 v[30:31], v[118:119], s[20:21], v[32:33] neg_lo:[0,0,1] neg_hi:[0,0,1]
	v_pk_fma_f32 v[156:157], v[118:119], s[20:21], v[32:33]
	v_mov_b32_e32 v149, v12
	v_mov_b32_e32 v31, v157
	v_pk_add_f32 v[30:31], v[30:31], v[34:35]
	v_mov_b32_e32 v12, v13
	v_accvgpr_write_b32 a28, v30
	v_mov_b32_e32 v146, v10
	v_mov_b32_e32 v147, v10
	;; [unrolled: 1-line block ×21, first 2 shown]
	v_accvgpr_write_b32 a29, v31
	s_barrier
	s_and_saveexec_b64 s[50:51], s[4:5]
	s_cbranch_execz .LBB0_17
; %bb.16:
	v_pk_mul_f32 v[34:35], v[108:109], s[6:7]
	v_pk_mul_f32 v[30:31], v[172:173], s[0:1]
	v_accvgpr_write_b32 a67, v35
	v_accvgpr_write_b32 a66, v34
	v_pk_mul_f32 v[34:35], v[110:111], s[24:25]
	v_pk_mul_f32 v[168:169], v[106:107], s[16:17]
	v_accvgpr_write_b32 a65, v35
	v_accvgpr_write_b32 a64, v34
	v_pk_mul_f32 v[34:35], v[112:113], s[22:23]
	v_accvgpr_read_b32 v19, a3
	v_accvgpr_write_b32 a63, v35
	v_accvgpr_write_b32 a62, v34
	v_pk_mul_f32 v[34:35], v[114:115], s[18:19]
	s_nop 0
	v_accvgpr_write_b32 a61, v35
	v_accvgpr_write_b32 a60, v34
	v_pk_mul_f32 v[34:35], v[116:117], s[26:27]
	s_nop 0
	v_accvgpr_write_b32 a59, v35
	v_accvgpr_write_b32 a58, v34
	v_pk_mul_f32 v[34:35], v[118:119], s[20:21]
	s_nop 0
	v_accvgpr_write_b32 a57, v35
	v_accvgpr_write_b32 a56, v34
	v_pk_mul_f32 v[34:35], v[172:173], s[16:17]
	s_nop 0
	v_accvgpr_write_b32 a55, v35
	v_accvgpr_write_b32 a54, v34
	v_pk_mul_f32 v[34:35], v[106:107], s[24:25]
	s_nop 0
	v_accvgpr_write_b32 a53, v35
	v_accvgpr_write_b32 a52, v34
	v_pk_mul_f32 v[34:35], v[108:109], s[18:19]
	s_nop 0
	v_accvgpr_write_b32 a51, v35
	v_accvgpr_write_b32 a50, v34
	v_pk_mul_f32 v[34:35], v[110:111], s[20:21]
	s_nop 0
	v_accvgpr_write_b32 a49, v35
	v_accvgpr_write_b32 a48, v34
	v_pk_mul_f32 v[34:35], v[112:113], s[28:29]
	s_nop 0
	v_accvgpr_write_b32 a47, v35
	v_accvgpr_write_b32 a46, v34
	v_pk_mul_f32 v[34:35], v[114:115], s[34:35]
	s_nop 0
	v_accvgpr_write_b32 a45, v35
	v_accvgpr_write_b32 a44, v34
	v_pk_mul_f32 v[34:35], v[116:117], s[30:31]
	s_nop 0
	v_accvgpr_write_b32 a43, v35
	v_accvgpr_write_b32 a42, v34
	v_pk_mul_f32 v[34:35], v[118:119], s[52:53]
	s_nop 0
	v_accvgpr_write_b32 a41, v35
	v_accvgpr_write_b32 a40, v34
	v_pk_mul_f32 v[34:35], v[172:173], s[6:7]
	s_nop 0
	v_accvgpr_write_b32 a39, v35
	v_accvgpr_write_b32 a38, v34
	v_pk_mul_f32 v[34:35], v[106:107], s[18:19]
	s_nop 0
	v_accvgpr_write_b32 a37, v35
	v_accvgpr_write_b32 a36, v34
	v_pk_add_f32 v[34:35], v[58:59], v[56:57]
	v_pk_mul_f32 v[58:59], v[108:109], s[72:73]
	v_pk_add_f32 v[34:35], v[70:71], v[34:35]
	v_pk_mul_f32 v[70:71], v[110:111], s[34:35]
	v_pk_add_f32 v[34:35], v[72:73], v[34:35]
	v_pk_add_f32 v[58:59], v[228:229], v[58:59] neg_lo:[0,1] neg_hi:[0,1]
	v_pk_add_f32 v[34:35], v[74:75], v[34:35]
	v_pk_mul_f32 v[72:73], v[112:113], s[36:37]
	v_pk_add_f32 v[34:35], v[76:77], v[34:35]
	v_mov_b32_e32 v227, v59
	v_pk_add_f32 v[34:35], v[66:67], v[34:35]
	v_pk_add_f32 v[58:59], v[232:233], v[70:71] neg_lo:[0,1] neg_hi:[0,1]
	v_pk_add_f32 v[34:35], v[68:69], v[34:35]
	v_pk_mul_f32 v[74:75], v[114:115], s[0:1]
	v_pk_add_f32 v[34:35], v[62:63], v[34:35]
	v_mov_b32_e32 v231, v59
	;; [unrolled: 6-line block ×4, first 2 shown]
	v_pk_add_f32 v[86:87], v[88:89], v[34:35]
	v_lshlrev_b32_e32 v34, 3, v19
	v_pk_add_f32 v[86:87], v[104:105], v[86:87]
	v_accvgpr_read_b32 v105, a31
	v_accvgpr_read_b32 v104, a30
	v_pk_add_f32 v[30:31], v[104:105], v[30:31] neg_lo:[0,1] neg_hi:[0,1]
	v_accvgpr_read_b32 v105, a33
	v_accvgpr_read_b32 v104, a32
	v_mov_b32_e32 v159, v31
	v_pk_add_f32 v[104:105], v[104:105], v[168:169] neg_lo:[0,1] neg_hi:[0,1]
	v_pk_add_f32 v[30:31], v[56:57], v[158:159]
	v_mov_b32_e32 v163, v105
	v_accvgpr_read_b32 v105, a35
	v_accvgpr_read_b32 v159, a67
	;; [unrolled: 1-line block ×4, first 2 shown]
	v_pk_add_f32 v[104:105], v[104:105], v[158:159] neg_lo:[0,1] neg_hi:[0,1]
	v_pk_add_f32 v[30:31], v[162:163], v[30:31]
	v_mov_b32_e32 v167, v105
	v_accvgpr_read_b32 v105, a65
	v_accvgpr_read_b32 v104, a64
	v_pk_add_f32 v[104:105], v[164:165], v[104:105] neg_lo:[0,1] neg_hi:[0,1]
	v_pk_add_f32 v[30:31], v[166:167], v[30:31]
	v_mov_b32_e32 v171, v105
	v_accvgpr_read_b32 v105, a63
	v_accvgpr_read_b32 v104, a62
	;; [unrolled: 5-line block ×7, first 2 shown]
	v_pk_add_f32 v[32:33], v[196:197], v[32:33] neg_lo:[0,1] neg_hi:[0,1]
	ds_write2_b64 v34, v[86:87], v[30:31] offset1:1
	v_mov_b32_e32 v195, v33
	v_accvgpr_read_b32 v32, a48
	v_accvgpr_read_b32 v33, a49
	v_pk_add_f32 v[32:33], v[200:201], v[32:33] neg_lo:[0,1] neg_hi:[0,1]
	v_accvgpr_read_b32 v30, a54
	v_mov_b32_e32 v199, v33
	v_accvgpr_read_b32 v32, a46
	v_accvgpr_read_b32 v33, a47
	v_pk_add_f32 v[32:33], v[202:203], v[32:33] neg_lo:[0,1] neg_hi:[0,1]
	v_accvgpr_read_b32 v31, a55
	;; [unrolled: 5-line block ×3, first 2 shown]
	v_mov_b32_e32 v209, v33
	v_accvgpr_read_b32 v32, a42
	v_accvgpr_read_b32 v33, a43
	v_pk_add_f32 v[32:33], v[210:211], v[32:33] neg_lo:[0,1] neg_hi:[0,1]
	v_pk_add_f32 v[30:31], v[188:189], v[30:31] neg_lo:[0,1] neg_hi:[0,1]
	v_mov_b32_e32 v213, v33
	v_accvgpr_read_b32 v32, a40
	v_accvgpr_read_b32 v33, a41
	v_pk_add_f32 v[32:33], v[214:215], v[32:33] neg_lo:[0,1] neg_hi:[0,1]
	v_accvgpr_read_b32 v86, a36
	v_mov_b32_e32 v219, v33
	v_accvgpr_read_b32 v32, a38
	v_accvgpr_read_b32 v33, a39
	v_pk_add_f32 v[32:33], v[220:221], v[32:33] neg_lo:[0,1] neg_hi:[0,1]
	v_mov_b32_e32 v187, v31
	v_mov_b32_e32 v217, v33
	v_pk_add_f32 v[86:87], v[224:225], v[86:87] neg_lo:[0,1] neg_hi:[0,1]
	v_pk_add_f32 v[30:31], v[56:57], v[186:187]
	v_pk_add_f32 v[32:33], v[56:57], v[216:217]
	v_mov_b32_e32 v223, v87
	v_pk_add_f32 v[30:31], v[190:191], v[30:31]
	v_pk_add_f32 v[32:33], v[222:223], v[32:33]
	;; [unrolled: 1-line block ×8, first 2 shown]
	v_pk_add_f32 v[58:59], v[252:253], v[66:67] neg_lo:[0,1] neg_hi:[0,1]
	v_pk_add_f32 v[30:31], v[208:209], v[30:31]
	v_pk_add_f32 v[32:33], v[242:243], v[32:33]
	v_mov_b32_e32 v251, v59
	v_pk_add_f32 v[58:59], v[98:99], v[68:69] neg_lo:[0,1] neg_hi:[0,1]
	v_pk_add_f32 v[30:31], v[212:213], v[30:31]
	v_pk_add_f32 v[32:33], v[250:251], v[32:33]
	v_mov_b32_e32 v97, v59
	v_pk_mul_f32 v[76:77], v[172:173], s[24:25]
	v_pk_add_f32 v[30:31], v[218:219], v[30:31]
	v_pk_add_f32 v[32:33], v[96:97], v[32:33]
	v_pk_mul_f32 v[62:63], v[106:107], s[20:21]
	ds_write2_b64 v34, v[30:31], v[32:33] offset0:2 offset1:3
	v_pk_add_f32 v[30:31], v[240:241], v[76:77] neg_lo:[0,1] neg_hi:[0,1]
	v_pk_mul_f32 v[64:65], v[108:109], s[34:35]
	v_mov_b32_e32 v239, v31
	v_pk_add_f32 v[32:33], v[248:249], v[62:63] neg_lo:[0,1] neg_hi:[0,1]
	v_pk_mul_f32 v[78:79], v[110:111], s[52:53]
	v_pk_add_f32 v[30:31], v[56:57], v[238:239]
	v_mov_b32_e32 v247, v33
	v_pk_add_f32 v[32:33], v[94:95], v[64:65] neg_lo:[0,1] neg_hi:[0,1]
	v_pk_mul_f32 v[80:81], v[112:113], s[6:7]
	v_pk_add_f32 v[30:31], v[246:247], v[30:31]
	v_mov_b32_e32 v255, v33
	v_pk_add_f32 v[32:33], v[90:91], v[78:79] neg_lo:[0,1] neg_hi:[0,1]
	v_pk_mul_f32 v[82:83], v[114:115], s[26:27]
	v_pk_add_f32 v[30:31], v[254:255], v[30:31]
	v_mov_b32_e32 v101, v33
	v_pk_add_f32 v[32:33], v[60:61], v[80:81] neg_lo:[0,1] neg_hi:[0,1]
	v_pk_mul_f32 v[84:85], v[116:117], s[60:61]
	v_pk_add_f32 v[30:31], v[100:101], v[30:31]
	v_mov_b32_e32 v103, v33
	v_pk_add_f32 v[16:17], v[16:17], v[82:83] neg_lo:[0,1] neg_hi:[0,1]
	v_pk_add_f32 v[30:31], v[102:103], v[30:31]
	v_mov_b32_e32 v123, v17
	v_pk_add_f32 v[20:21], v[20:21], v[84:85] neg_lo:[0,1] neg_hi:[0,1]
	v_pk_mul_f32 v[88:89], v[118:119], s[36:37]
	v_pk_mul_f32 v[172:173], v[160:161], s[38:39] op_sel_hi:[1,0]
	s_mov_b32 s72, s39
	v_pk_add_f32 v[16:17], v[122:123], v[30:31]
	v_mov_b32_e32 v19, v21
	v_pk_add_f32 v[16:17], v[18:19], v[16:17]
	v_pk_add_f32 v[18:19], v[28:29], v[88:89] neg_lo:[0,1] neg_hi:[0,1]
	v_pk_mul_f32 v[72:73], v[124:125], s[68:69]
	v_pk_fma_f32 v[74:75], v[120:121], s[72:73], v[172:173] op_sel:[0,0,1] op_sel_hi:[1,0,0]
	v_pk_fma_f32 v[76:77], v[120:121], s[72:73], v[172:173] op_sel:[0,0,1] op_sel_hi:[1,0,0] neg_lo:[0,0,1] neg_hi:[0,0,1]
	v_mov_b32_e32 v23, v19
	v_mov_b32_e32 v18, v74
	;; [unrolled: 1-line block ×3, first 2 shown]
	v_pk_fma_f32 v[78:79], v[106:107], s[28:29], v[72:73]
	v_pk_fma_f32 v[20:21], v[106:107], s[28:29], v[72:73] neg_lo:[1,0,0] neg_hi:[1,0,0]
	v_pk_mul_f32 v[70:71], v[126:127], s[64:65]
	v_pk_add_f32 v[18:19], v[56:57], v[18:19]
	v_mov_b32_e32 v20, v78
	v_pk_add_f32 v[18:19], v[20:21], v[18:19]
	v_pk_fma_f32 v[80:81], v[108:109], s[36:37], v[70:71]
	v_pk_fma_f32 v[20:21], v[108:109], s[36:37], v[70:71] neg_lo:[1,0,0] neg_hi:[1,0,0]
	v_pk_mul_f32 v[68:69], v[128:129], s[62:63]
	v_mov_b32_e32 v20, v80
	v_pk_add_f32 v[18:19], v[20:21], v[18:19]
	v_pk_fma_f32 v[82:83], v[110:111], s[6:7], v[68:69]
	v_pk_fma_f32 v[20:21], v[110:111], s[6:7], v[68:69] neg_lo:[1,0,0] neg_hi:[1,0,0]
	v_pk_mul_f32 v[64:65], v[130:131], s[46:47]
	s_mov_b32 s63, 0x3f7ee86f
	v_mov_b32_e32 v20, v82
	s_mov_b32 s68, s63
	s_mov_b32 s69, s49
	v_pk_add_f32 v[18:19], v[20:21], v[18:19]
	v_pk_fma_f32 v[84:85], v[112:113], s[20:21], v[64:65]
	v_pk_fma_f32 v[20:21], v[112:113], s[20:21], v[64:65] neg_lo:[1,0,0] neg_hi:[1,0,0]
	s_mov_b32 s62, s49
	v_pk_mul_f32 v[66:67], v[132:133], s[68:69]
	v_mov_b32_e32 v20, v84
	v_pk_add_f32 v[18:19], v[20:21], v[18:19]
	v_pk_fma_f32 v[86:87], v[114:115], s[62:63], v[66:67]
	v_pk_fma_f32 v[20:21], v[114:115], s[62:63], v[66:67] neg_lo:[1,0,0] neg_hi:[1,0,0]
	v_pk_mul_f32 v[62:63], v[136:137], s[40:41]
	v_mov_b32_e32 v20, v86
	v_pk_add_f32 v[18:19], v[20:21], v[18:19]
	v_pk_fma_f32 v[88:89], v[116:117], s[0:1], v[62:63]
	v_pk_fma_f32 v[20:21], v[116:117], s[0:1], v[62:63] neg_lo:[1,0,0] neg_hi:[1,0,0]
	;; [unrolled: 5-line block ×3, first 2 shown]
	v_pk_add_f32 v[16:17], v[22:23], v[16:17]
	v_mov_b32_e32 v20, v104
	v_pk_add_f32 v[18:19], v[20:21], v[18:19]
	v_mov_b64_e32 v[162:163], v[160:161]
	ds_write2_b64 v34, v[16:17], v[18:19] offset0:4 offset1:5
	s_mov_b32 s72, s43
	v_pk_mul_f32 v[16:17], v[162:163], s[42:43] op_sel_hi:[1,0]
	v_pk_mul_f32 v[18:19], v[124:125], s[66:67]
	v_pk_fma_f32 v[90:91], v[120:121], s[72:73], v[16:17] op_sel:[0,0,1] op_sel_hi:[1,0,0]
	v_pk_fma_f32 v[16:17], v[120:121], s[72:73], v[16:17] op_sel:[0,0,1] op_sel_hi:[1,0,0] neg_lo:[0,0,1] neg_hi:[0,0,1]
	v_mov_b32_e32 v94, v90
	v_mov_b32_e32 v95, v17
	v_pk_fma_f32 v[96:97], v[106:107], s[34:35], v[18:19]
	v_pk_fma_f32 v[98:99], v[106:107], s[34:35], v[18:19] neg_lo:[1,0,0] neg_hi:[1,0,0]
	v_pk_mul_f32 v[20:21], v[126:127], s[40:41]
	v_pk_add_f32 v[94:95], v[56:57], v[94:95]
	v_mov_b32_e32 v98, v96
	v_pk_add_f32 v[94:95], v[98:99], v[94:95]
	v_pk_fma_f32 v[98:99], v[108:109], s[0:1], v[20:21]
	v_pk_fma_f32 v[100:101], v[108:109], s[0:1], v[20:21] neg_lo:[1,0,0] neg_hi:[1,0,0]
	v_pk_mul_f32 v[22:23], v[128:129], s[44:45]
	v_mov_b32_e32 v100, v98
	v_pk_add_f32 v[94:95], v[100:101], v[94:95]
	v_pk_fma_f32 v[100:101], v[110:111], s[26:27], v[22:23]
	v_pk_fma_f32 v[102:103], v[110:111], s[26:27], v[22:23] neg_lo:[1,0,0] neg_hi:[1,0,0]
	v_pk_mul_f32 v[28:29], v[130:131], s[68:69]
	v_mov_b32_e32 v102, v100
	v_pk_add_f32 v[94:95], v[102:103], v[94:95]
	v_pk_fma_f32 v[102:103], v[112:113], s[62:63], v[28:29]
	v_pk_fma_f32 v[122:123], v[112:113], s[62:63], v[28:29] neg_lo:[1,0,0] neg_hi:[1,0,0]
	v_pk_mul_f32 v[30:31], v[132:133], s[54:55]
	v_mov_b32_e32 v122, v102
	v_pk_add_f32 v[94:95], v[122:123], v[94:95]
	v_pk_fma_f32 v[122:123], v[114:115], s[16:17], v[30:31]
	v_pk_fma_f32 v[156:157], v[114:115], s[16:17], v[30:31] neg_lo:[1,0,0] neg_hi:[1,0,0]
	v_pk_mul_f32 v[32:33], v[136:137], s[46:47]
	v_mov_b32_e32 v156, v122
	v_pk_add_f32 v[94:95], v[156:157], v[94:95]
	v_pk_fma_f32 v[156:157], v[116:117], s[20:21], v[32:33]
	v_pk_fma_f32 v[158:159], v[116:117], s[20:21], v[32:33] neg_lo:[1,0,0] neg_hi:[1,0,0]
	v_pk_mul_f32 v[60:61], v[144:145], s[56:57]
	v_mov_b32_e32 v158, v156
	v_pk_add_f32 v[94:95], v[158:159], v[94:95]
	v_pk_fma_f32 v[158:159], v[118:119], s[30:31], v[60:61]
	v_pk_fma_f32 v[160:161], v[118:119], s[30:31], v[60:61] neg_lo:[1,0,0] neg_hi:[1,0,0]
	s_mov_b32 s54, s45
	v_mov_b32_e32 v160, v158
	v_pk_add_f32 v[94:95], v[160:161], v[94:95]
	v_pk_mul_f32 v[160:161], v[162:163], s[44:45] op_sel_hi:[1,0]
	v_mov_b64_e32 v[196:197], v[162:163]
	v_pk_mul_f32 v[162:163], v[124:125], s[56:57]
	v_pk_fma_f32 v[176:177], v[120:121], s[54:55], v[160:161] op_sel:[0,0,1] op_sel_hi:[1,0,0]
	v_pk_fma_f32 v[160:161], v[120:121], s[54:55], v[160:161] op_sel:[0,0,1] op_sel_hi:[1,0,0] neg_lo:[0,0,1] neg_hi:[0,0,1]
	v_mov_b32_e32 v178, v176
	v_mov_b32_e32 v179, v161
	v_pk_fma_f32 v[180:181], v[106:107], s[30:31], v[162:163]
	v_pk_fma_f32 v[182:183], v[106:107], s[30:31], v[162:163] neg_lo:[1,0,0] neg_hi:[1,0,0]
	v_pk_mul_f32 v[164:165], v[126:127], s[48:49]
	v_pk_add_f32 v[178:179], v[56:57], v[178:179]
	v_mov_b32_e32 v182, v180
	v_pk_add_f32 v[178:179], v[182:183], v[178:179]
	v_pk_fma_f32 v[182:183], v[108:109], s[24:25], v[164:165]
	v_pk_fma_f32 v[184:185], v[108:109], s[24:25], v[164:165] neg_lo:[1,0,0] neg_hi:[1,0,0]
	v_pk_mul_f32 v[166:167], v[128:129], s[70:71]
	v_mov_b32_e32 v184, v182
	v_pk_add_f32 v[178:179], v[184:185], v[178:179]
	v_pk_fma_f32 v[184:185], v[110:111], s[60:61], v[166:167]
	v_pk_fma_f32 v[186:187], v[110:111], s[60:61], v[166:167] neg_lo:[1,0,0] neg_hi:[1,0,0]
	v_pk_mul_f32 v[168:169], v[130:131], s[40:41]
	;; [unrolled: 5-line block ×5, first 2 shown]
	v_mov_b32_e32 v192, v190
	v_pk_add_f32 v[178:179], v[192:193], v[178:179]
	v_pk_fma_f32 v[192:193], v[118:119], s[22:23], v[174:175]
	v_pk_fma_f32 v[194:195], v[118:119], s[22:23], v[174:175] neg_lo:[1,0,0] neg_hi:[1,0,0]
	s_mov_b32 s40, s47
	v_mov_b32_e32 v194, v192
	v_pk_add_f32 v[178:179], v[194:195], v[178:179]
	ds_write2_b64 v34, v[94:95], v[178:179] offset0:6 offset1:7
	v_pk_mul_f32 v[94:95], v[196:197], s[46:47] op_sel_hi:[1,0]
	v_pk_mul_f32 v[124:125], v[124:125], s[58:59]
	v_pk_fma_f32 v[178:179], v[120:121], s[40:41], v[94:95] op_sel:[0,0,1] op_sel_hi:[1,0,0]
	v_pk_fma_f32 v[94:95], v[120:121], s[40:41], v[94:95] op_sel:[0,0,1] op_sel_hi:[1,0,0] neg_lo:[0,0,1] neg_hi:[0,0,1]
	v_mov_b32_e32 v120, v178
	v_mov_b32_e32 v121, v95
	v_pk_fma_f32 v[194:195], v[106:107], s[52:53], v[124:125]
	v_pk_fma_f32 v[196:197], v[106:107], s[52:53], v[124:125] neg_lo:[1,0,0] neg_hi:[1,0,0]
	v_mov_b32_e32 v95, v179
	v_pk_fma_f32 v[124:125], v[106:107], s[52:53], v[124:125] neg_lo:[0,0,1] neg_hi:[0,0,1]
	v_pk_mul_f32 v[126:127], v[126:127], s[44:45]
	v_pk_add_f32 v[120:121], v[56:57], v[120:121]
	v_mov_b32_e32 v196, v194
	v_pk_add_f32 v[94:95], v[56:57], v[94:95]
	v_mov_b32_e32 v125, v195
	v_pk_add_f32 v[120:121], v[196:197], v[120:121]
	v_pk_fma_f32 v[196:197], v[108:109], s[26:27], v[126:127]
	v_pk_fma_f32 v[198:199], v[108:109], s[26:27], v[126:127] neg_lo:[1,0,0] neg_hi:[1,0,0]
	v_pk_add_f32 v[94:95], v[124:125], v[94:95]
	v_pk_fma_f32 v[124:125], v[108:109], s[26:27], v[126:127] neg_lo:[0,0,1] neg_hi:[0,0,1]
	v_pk_mul_f32 v[128:129], v[128:129], s[64:65]
	v_mov_b32_e32 v198, v196
	v_mov_b32_e32 v125, v197
	v_pk_add_f32 v[120:121], v[198:199], v[120:121]
	v_pk_fma_f32 v[198:199], v[110:111], s[36:37], v[128:129]
	v_pk_fma_f32 v[200:201], v[110:111], s[36:37], v[128:129] neg_lo:[1,0,0] neg_hi:[1,0,0]
	v_pk_add_f32 v[94:95], v[124:125], v[94:95]
	v_pk_fma_f32 v[124:125], v[110:111], s[36:37], v[128:129] neg_lo:[0,0,1] neg_hi:[0,0,1]
	v_pk_mul_f32 v[130:131], v[130:131], s[42:43]
	v_mov_b32_e32 v200, v198
	;; [unrolled: 8-line block ×5, first 2 shown]
	v_mov_b32_e32 v125, v205
	v_pk_add_f32 v[120:121], v[206:207], v[120:121]
	v_pk_fma_f32 v[206:207], v[118:119], s[62:63], v[144:145]
	v_pk_fma_f32 v[208:209], v[118:119], s[62:63], v[144:145] neg_lo:[1,0,0] neg_hi:[1,0,0]
	v_pk_add_f32 v[94:95], v[124:125], v[94:95]
	v_pk_fma_f32 v[124:125], v[118:119], s[62:63], v[144:145] neg_lo:[0,0,1] neg_hi:[0,0,1]
	v_mov_b32_e32 v208, v206
	v_mov_b32_e32 v125, v207
	v_pk_add_f32 v[120:121], v[208:209], v[120:121]
	v_pk_add_f32 v[94:95], v[124:125], v[94:95]
	ds_write2_b64 v34, v[120:121], v[94:95] offset0:8 offset1:9
	v_mov_b32_e32 v161, v177
	v_pk_fma_f32 v[120:121], v[106:107], s[30:31], v[162:163] neg_lo:[0,0,1] neg_hi:[0,0,1]
	v_mov_b32_e32 v17, v91
	v_pk_fma_f32 v[18:19], v[106:107], s[34:35], v[18:19] neg_lo:[0,0,1] neg_hi:[0,0,1]
	v_pk_add_f32 v[94:95], v[56:57], v[160:161]
	v_mov_b32_e32 v121, v181
	v_pk_add_f32 v[16:17], v[56:57], v[16:17]
	v_mov_b32_e32 v19, v97
	v_pk_add_f32 v[94:95], v[120:121], v[94:95]
	v_pk_fma_f32 v[120:121], v[108:109], s[24:25], v[164:165] neg_lo:[0,0,1] neg_hi:[0,0,1]
	v_pk_add_f32 v[16:17], v[18:19], v[16:17]
	v_pk_fma_f32 v[18:19], v[108:109], s[0:1], v[20:21] neg_lo:[0,0,1] neg_hi:[0,0,1]
	v_mov_b32_e32 v121, v183
	v_mov_b32_e32 v19, v99
	v_pk_add_f32 v[94:95], v[120:121], v[94:95]
	v_pk_fma_f32 v[120:121], v[110:111], s[60:61], v[166:167] neg_lo:[0,0,1] neg_hi:[0,0,1]
	v_pk_add_f32 v[16:17], v[18:19], v[16:17]
	v_pk_fma_f32 v[18:19], v[110:111], s[26:27], v[22:23] neg_lo:[0,0,1] neg_hi:[0,0,1]
	v_mov_b32_e32 v121, v185
	v_mov_b32_e32 v19, v101
	v_pk_add_f32 v[94:95], v[120:121], v[94:95]
	v_pk_fma_f32 v[120:121], v[112:113], s[0:1], v[168:169] neg_lo:[0,0,1] neg_hi:[0,0,1]
	v_pk_add_f32 v[16:17], v[18:19], v[16:17]
	v_pk_fma_f32 v[18:19], v[112:113], s[62:63], v[28:29] neg_lo:[0,0,1] neg_hi:[0,0,1]
	v_mov_b32_e32 v121, v187
	v_mov_b32_e32 v19, v103
	v_pk_add_f32 v[94:95], v[120:121], v[94:95]
	v_pk_fma_f32 v[120:121], v[114:115], s[20:21], v[170:171] neg_lo:[0,0,1] neg_hi:[0,0,1]
	v_pk_add_f32 v[16:17], v[18:19], v[16:17]
	v_pk_fma_f32 v[18:19], v[114:115], s[16:17], v[30:31] neg_lo:[0,0,1] neg_hi:[0,0,1]
	v_mov_b32_e32 v121, v189
	v_mov_b32_e32 v19, v123
	v_pk_add_f32 v[94:95], v[120:121], v[94:95]
	v_pk_fma_f32 v[120:121], v[116:117], s[36:37], v[172:173] neg_lo:[0,0,1] neg_hi:[0,0,1]
	v_pk_add_f32 v[16:17], v[18:19], v[16:17]
	v_pk_fma_f32 v[18:19], v[116:117], s[20:21], v[32:33] neg_lo:[0,0,1] neg_hi:[0,0,1]
	v_mov_b32_e32 v121, v191
	v_mov_b32_e32 v19, v157
	v_pk_add_f32 v[94:95], v[120:121], v[94:95]
	v_pk_fma_f32 v[120:121], v[118:119], s[22:23], v[174:175] neg_lo:[0,0,1] neg_hi:[0,0,1]
	v_pk_add_f32 v[16:17], v[18:19], v[16:17]
	v_pk_fma_f32 v[18:19], v[118:119], s[30:31], v[60:61] neg_lo:[0,0,1] neg_hi:[0,0,1]
	v_mov_b32_e32 v121, v193
	v_mov_b32_e32 v19, v159
	v_pk_add_f32 v[94:95], v[120:121], v[94:95]
	v_pk_add_f32 v[16:17], v[18:19], v[16:17]
	v_mov_b32_e32 v77, v75
	v_pk_fma_f32 v[18:19], v[106:107], s[28:29], v[72:73] neg_lo:[0,0,1] neg_hi:[0,0,1]
	ds_write2_b64 v34, v[94:95], v[16:17] offset0:10 offset1:11
	v_pk_add_f32 v[16:17], v[56:57], v[76:77]
	v_mov_b32_e32 v19, v79
	v_pk_add_f32 v[16:17], v[18:19], v[16:17]
	v_pk_fma_f32 v[18:19], v[108:109], s[36:37], v[70:71] neg_lo:[0,0,1] neg_hi:[0,0,1]
	s_nop 0
	v_mov_b32_e32 v19, v81
	v_pk_add_f32 v[16:17], v[18:19], v[16:17]
	v_pk_fma_f32 v[18:19], v[110:111], s[6:7], v[68:69] neg_lo:[0,0,1] neg_hi:[0,0,1]
	s_nop 0
	;; [unrolled: 4-line block ×6, first 2 shown]
	v_mov_b32_e32 v19, v105
	v_pk_add_f32 v[16:17], v[18:19], v[16:17]
	v_accvgpr_read_b32 v18, a26
	v_accvgpr_read_b32 v19, a27
	ds_write2_b64 v34, v[16:17], v[18:19] offset0:12 offset1:13
	v_accvgpr_read_b32 v16, a22
	v_accvgpr_read_b32 v18, a24
	;; [unrolled: 1-line block ×4, first 2 shown]
	ds_write2_b64 v34, v[18:19], v[16:17] offset0:14 offset1:15
	ds_write_b64 v34, a[28:29] offset:128
.LBB0_17:
	s_or_b64 exec, exec, s[50:51]
	s_waitcnt lgkmcnt(0)
	s_barrier
	ds_read2_b64 v[56:59], v92 offset1:153
	v_mov_b32_e32 v20, v37
	v_add_u32_e32 v16, 0x1000, v92
	ds_read2_b64 v[16:19], v16 offset0:100 offset1:253
	s_mov_b32 s16, 0x3eedf032
	s_waitcnt lgkmcnt(1)
	v_pk_mul_f32 v[20:21], v[20:21], v[58:59] op_sel:[0,1] op_sel_hi:[1,0]
	v_pk_mul_f32 v[28:29], v[36:37], v[58:59] op_sel:[0,1] op_sel_hi:[1,0]
	v_pk_fma_f32 v[60:61], v[36:37], v[58:59], v[20:21]
	v_add_u32_e32 v20, 0x800, v92
	ds_read2_b64 v[20:23], v20 offset0:50 offset1:203
	v_mov_b32_e32 v28, v29
	v_pk_fma_f32 v[82:83], v[36:37], v[58:59], v[28:29] op_sel:[0,1,0] op_sel_hi:[1,0,1] neg_lo:[0,0,1] neg_hi:[0,0,1]
	v_mov_b32_e32 v28, v39
	v_pk_add_f32 v[78:79], v[56:57], v[60:61]
	s_waitcnt lgkmcnt(0)
	v_pk_mul_f32 v[28:29], v[28:29], v[20:21] op_sel:[0,1] op_sel_hi:[1,0]
	v_pk_mul_f32 v[26:27], v[26:27], v[16:17]
	v_pk_fma_f32 v[36:37], v[38:39], v[20:21], v[28:29]
	v_pk_mul_f32 v[28:29], v[38:39], v[20:21] op_sel:[0,1] op_sel_hi:[1,0]
	v_mov_b32_e32 v88, v36
	v_mov_b32_e32 v28, v29
	v_pk_fma_f32 v[38:39], v[38:39], v[20:21], v[28:29] op_sel:[0,1,0] op_sel_hi:[1,0,1] neg_lo:[0,0,1] neg_hi:[0,0,1]
	v_mov_b32_e32 v20, v25
	v_pk_mul_f32 v[20:21], v[20:21], v[22:23] op_sel:[0,1] op_sel_hi:[1,0]
	v_mov_b32_e32 v89, v38
	v_pk_fma_f32 v[58:59], v[24:25], v[22:23], v[20:21]
	v_pk_mul_f32 v[20:21], v[24:25], v[22:23] op_sel:[0,1] op_sel_hi:[1,0]
	v_pk_fma_f32 v[90:91], v[150:151], v[16:17], v[26:27] op_sel:[0,0,1] op_sel_hi:[1,1,0]
	v_mov_b32_e32 v20, v21
	v_pk_fma_f32 v[76:77], v[24:25], v[22:23], v[20:21] op_sel:[0,1,0] op_sel_hi:[1,0,1] neg_lo:[0,0,1] neg_hi:[0,0,1]
	v_mov_b32_e32 v21, v82
	v_pk_add_f32 v[20:21], v[56:57], v[20:21]
	v_pk_fma_f32 v[16:17], v[150:151], v[16:17], v[26:27] op_sel:[0,0,1] op_sel_hi:[1,1,0] neg_lo:[0,0,1] neg_hi:[0,0,1]
	v_add_u32_e32 v20, 0x1c00, v92
	ds_read2_b64 v[22:25], v20 offset0:22 offset1:175
	v_add_u32_e32 v20, 0x2400, v92
	ds_read2_b64 v[28:31], v20 offset0:72 offset1:225
	v_mov_b32_e32 v79, v21
	v_add_u32_e32 v20, 0x2e00, v92
	v_pk_mul_f32 v[12:13], v[12:13], v[18:19]
	v_pk_add_f32 v[78:79], v[78:79], v[88:89]
	v_mov_b32_e32 v88, v58
	v_mov_b32_e32 v89, v76
	ds_read2_b64 v[32:35], v20 offset0:58 offset1:211
	ds_read_b64 v[80:81], v92 offset:14688
	v_mov_b32_e32 v26, v90
	v_mov_b32_e32 v27, v17
	v_pk_fma_f32 v[94:95], v[148:149], v[18:19], v[12:13] op_sel:[0,0,1] op_sel_hi:[1,1,0]
	v_pk_fma_f32 v[18:19], v[148:149], v[18:19], v[12:13] op_sel:[0,0,1] op_sel_hi:[1,1,0] neg_lo:[0,0,1] neg_hi:[0,0,1]
	s_waitcnt lgkmcnt(3)
	v_pk_mul_f32 v[14:15], v[14:15], v[22:23]
	v_pk_add_f32 v[78:79], v[78:79], v[88:89]
	v_mov_b32_e32 v12, v94
	v_mov_b32_e32 v13, v19
	v_pk_fma_f32 v[96:97], v[154:155], v[22:23], v[14:15] op_sel:[0,0,1] op_sel_hi:[1,1,0]
	v_pk_fma_f32 v[22:23], v[154:155], v[22:23], v[14:15] op_sel:[0,0,1] op_sel_hi:[1,1,0] neg_lo:[0,0,1] neg_hi:[0,0,1]
	v_pk_mul_f32 v[8:9], v[8:9], v[24:25]
	v_pk_add_f32 v[26:27], v[78:79], v[26:27]
	v_mov_b32_e32 v14, v96
	v_mov_b32_e32 v15, v23
	v_pk_fma_f32 v[98:99], v[152:153], v[24:25], v[8:9] op_sel:[0,0,1] op_sel_hi:[1,1,0]
	v_pk_fma_f32 v[100:101], v[152:153], v[24:25], v[8:9] op_sel:[0,0,1] op_sel_hi:[1,1,0] neg_lo:[0,0,1] neg_hi:[0,0,1]
	s_waitcnt lgkmcnt(2)
	v_pk_mul_f32 v[10:11], v[10:11], v[28:29]
	v_pk_add_f32 v[12:13], v[26:27], v[12:13]
	v_mov_b32_e32 v8, v98
	v_mov_b32_e32 v9, v101
	v_pk_fma_f32 v[24:25], v[146:147], v[28:29], v[10:11] op_sel:[0,0,1] op_sel_hi:[1,1,0]
	v_pk_fma_f32 v[28:29], v[146:147], v[28:29], v[10:11] op_sel:[0,0,1] op_sel_hi:[1,1,0] neg_lo:[0,0,1] neg_hi:[0,0,1]
	v_pk_mul_f32 v[4:5], v[4:5], v[30:31]
	v_pk_add_f32 v[12:13], v[12:13], v[14:15]
	;; [unrolled: 13-line block ×3, first 2 shown]
	v_mov_b32_e32 v32, v86
	v_mov_b32_e32 v33, v7
	v_pk_fma_f32 v[84:85], v[138:139], v[34:35], v[0:1] op_sel:[0,0,1] op_sel_hi:[1,1,0]
	v_pk_fma_f32 v[0:1], v[138:139], v[34:35], v[0:1] op_sel:[0,0,1] op_sel_hi:[1,1,0] neg_lo:[0,0,1] neg_hi:[0,0,1]
	s_waitcnt lgkmcnt(0)
	v_pk_mul_f32 v[2:3], v[2:3], v[80:81]
	v_pk_add_f32 v[8:9], v[8:9], v[30:31]
	v_mov_b32_e32 v34, v84
	v_mov_b32_e32 v35, v1
	v_pk_fma_f32 v[110:111], v[134:135], v[80:81], v[2:3] op_sel:[0,0,1] op_sel_hi:[1,1,0]
	v_pk_fma_f32 v[2:3], v[134:135], v[80:81], v[2:3] op_sel:[0,0,1] op_sel_hi:[1,1,0] neg_lo:[0,0,1] neg_hi:[0,0,1]
	v_pk_add_f32 v[8:9], v[8:9], v[32:33]
	v_mov_b32_e32 v80, v110
	v_mov_b32_e32 v81, v3
	v_pk_add_f32 v[8:9], v[8:9], v[34:35]
	v_pk_add_f32 v[10:11], v[36:37], v[84:85] neg_lo:[0,1] neg_hi:[0,1]
	v_pk_add_f32 v[106:107], v[8:9], v[80:81]
	v_pk_add_f32 v[8:9], v[36:37], v[84:85]
	v_pk_add_f32 v[12:13], v[58:59], v[86:87] neg_lo:[0,1] neg_hi:[0,1]
	v_mov_b32_e32 v9, v10
	v_pk_add_f32 v[10:11], v[58:59], v[86:87]
	v_pk_add_f32 v[14:15], v[90:91], v[102:103] neg_lo:[0,1] neg_hi:[0,1]
	v_mov_b32_e32 v11, v12
	;; [unrolled: 3-line block ×3, first 2 shown]
	v_pk_add_f32 v[58:59], v[16:17], v[4:5]
	v_pk_add_f32 v[14:15], v[94:95], v[24:25]
	v_pk_add_f32 v[16:17], v[94:95], v[24:25] neg_lo:[0,1] neg_hi:[0,1]
	v_pk_add_f32 v[24:25], v[96:97], v[98:99]
	v_pk_add_f32 v[36:37], v[96:97], v[98:99] neg_lo:[0,1] neg_hi:[0,1]
	s_mov_b32 s17, 0x3f62ad3f
	v_mov_b32_e32 v25, v36
	v_pk_add_f32 v[94:95], v[22:23], v[100:101] neg_lo:[0,1] neg_hi:[0,1]
	v_pk_add_f32 v[78:79], v[22:23], v[100:101]
	v_pk_add_f32 v[36:37], v[60:61], v[110:111]
	v_pk_add_f32 v[22:23], v[60:61], v[110:111] neg_lo:[0,1] neg_hi:[0,1]
	s_mov_b32 s48, 0xbeedf032
	s_mov_b32 s26, 0xbf6f5d39
	s_mov_b32 s22, 0x3f29c268
	v_mov_b32_e32 v37, v22
	s_mov_b32 s18, s17
	s_mov_b32 s19, s48
	;; [unrolled: 1-line block ×4, first 2 shown]
	v_pk_add_f32 v[22:23], v[82:83], v[2:3] op_sel:[0,1] neg_lo:[0,1] neg_hi:[0,1]
	v_pk_add_f32 v[82:83], v[82:83], v[2:3] op_sel_hi:[0,1]
	v_pk_mul_f32 v[60:61], v[36:37], s[18:19]
	s_mov_b32 s18, s27
	s_mov_b32 s19, s26
	;; [unrolled: 1-line block ×3, first 2 shown]
	v_pk_add_f32 v[30:31], v[38:39], v[0:1] op_sel:[0,1] neg_lo:[0,1] neg_hi:[0,1]
	v_pk_add_f32 v[26:27], v[38:39], v[0:1] op_sel_hi:[0,1]
	s_mov_b32 s36, s23
	s_mov_b32 s37, s22
	v_mov_b32_e32 v82, v22
	v_pk_mul_f32 v[98:99], v[36:37], s[18:19]
	s_mov_b32 s43, 0x3f116cb1
	v_mov_b32_e32 v26, v30
	v_pk_mul_f32 v[84:85], v[8:9], s[36:37]
	s_mov_b32 s30, 0xbf7e222b
	s_mov_b32 s49, s17
	v_pk_fma_f32 v[100:101], v[22:23], s[26:27], v[98:99] neg_lo:[1,0,0] neg_hi:[1,0,0]
	v_pk_fma_f32 v[102:103], v[82:83], s[26:27], v[98:99]
	s_mov_b32 s20, s43
	s_mov_b32 s21, s42
	v_pk_fma_f32 v[0:1], v[30:31], s[22:23], v[84:85] neg_lo:[1,0,0] neg_hi:[1,0,0]
	v_pk_fma_f32 v[80:81], v[26:27], s[22:23], v[84:85]
	s_mov_b32 s31, 0x3df6dbef
	v_pk_fma_f32 v[2:3], v[22:23], s[48:49], v[60:61] neg_lo:[1,0,0] neg_hi:[1,0,0]
	v_pk_fma_f32 v[96:97], v[82:83], s[48:49], v[60:61]
	v_mov_b32_e32 v101, v103
	v_pk_mul_f32 v[110:111], v[8:9], s[20:21]
	v_mov_b32_e32 v1, v81
	v_pk_add_f32 v[32:33], v[76:77], v[6:7] op_sel:[0,1] neg_lo:[0,1] neg_hi:[0,1]
	v_pk_add_f32 v[38:39], v[76:77], v[6:7] op_sel_hi:[0,1]
	s_mov_b32 s46, s31
	s_mov_b32 s47, s30
	v_mov_b32_e32 v3, v97
	v_pk_add_f32 v[100:101], v[56:57], v[100:101]
	v_pk_fma_f32 v[112:113], v[30:31], s[42:43], v[110:111] neg_lo:[1,0,0] neg_hi:[1,0,0]
	v_pk_fma_f32 v[114:115], v[26:27], s[42:43], v[110:111]
	v_mov_b32_e32 v38, v32
	s_mov_b32 s0, s17
	s_mov_b32 s1, s16
	;; [unrolled: 1-line block ×3, first 2 shown]
	v_pk_add_f32 v[2:3], v[56:57], v[2:3]
	v_mov_b32_e32 v113, v115
	v_pk_add_f32 v[0:1], v[0:1], v[100:101]
	v_pk_mul_f32 v[100:101], v[10:11], s[46:47]
	v_pk_mul_f32 v[88:89], v[10:11], s[0:1]
	s_mov_b32 s29, 0xbf788fa5
	v_pk_add_f32 v[2:3], v[112:113], v[2:3]
	v_pk_fma_f32 v[112:113], v[32:33], s[30:31], v[100:101] neg_lo:[1,0,0] neg_hi:[1,0,0]
	v_pk_fma_f32 v[116:117], v[38:39], s[30:31], v[100:101]
	v_pk_fma_f32 v[6:7], v[32:33], s[16:17], v[88:89] neg_lo:[1,0,0] neg_hi:[1,0,0]
	v_pk_fma_f32 v[86:87], v[38:39], s[16:17], v[88:89]
	v_mov_b32_e32 v58, v35
	v_pk_mul_f32 v[108:109], v[12:13], s[46:47]
	v_mov_b32_e32 v15, v16
	v_pk_add_f32 v[90:91], v[18:19], v[28:29] neg_lo:[0,1] neg_hi:[0,1]
	v_pk_add_f32 v[76:77], v[18:19], v[28:29]
	s_mov_b32 s6, s29
	s_mov_b32 s7, s28
	v_mov_b32_e32 v113, v117
	s_mov_b32 s40, 0xbf29c268
	v_mov_b32_e32 v7, v87
	v_pk_fma_f32 v[4:5], v[34:35], s[30:31], v[108:109] op_sel:[1,0,0] neg_lo:[1,0,0] neg_hi:[1,0,0]
	v_pk_fma_f32 v[104:105], v[58:59], s[30:31], v[108:109]
	v_mov_b32_e32 v76, v91
	v_pk_mul_f32 v[18:19], v[14:15], s[6:7]
	v_pk_add_f32 v[2:3], v[112:113], v[2:3]
	v_pk_mul_f32 v[112:113], v[12:13], s[18:19]
	s_mov_b32 s24, s23
	s_mov_b32 s25, s40
	v_mov_b32_e32 v5, v105
	v_pk_fma_f32 v[28:29], v[90:91], s[28:29], v[18:19] op_sel:[1,0,0] neg_lo:[1,0,0] neg_hi:[1,0,0]
	v_pk_fma_f32 v[16:17], v[76:77], s[28:29], v[18:19]
	v_pk_add_f32 v[0:1], v[6:7], v[0:1]
	v_pk_fma_f32 v[6:7], v[34:35], s[26:27], v[112:113] op_sel:[1,0,0] neg_lo:[1,0,0] neg_hi:[1,0,0]
	v_pk_fma_f32 v[118:119], v[58:59], s[26:27], v[112:113]
	s_mov_b32 s41, s23
	v_pk_mul_f32 v[120:121], v[14:15], s[24:25]
	s_mov_b32 s38, 0xbe750f2a
	v_mov_b32_e32 v29, v17
	v_mov_b32_e32 v7, v119
	v_pk_add_f32 v[0:1], v[4:5], v[0:1]
	v_pk_fma_f32 v[4:5], v[90:91], s[40:41], v[120:121] op_sel:[1,0,0] neg_lo:[1,0,0] neg_hi:[1,0,0]
	v_pk_fma_f32 v[122:123], v[76:77], s[40:41], v[120:121]
	s_mov_b32 s34, s29
	s_mov_b32 s35, s38
	v_mov_b32_e32 v78, v95
	v_pk_add_f32 v[2:3], v[6:7], v[2:3]
	v_mov_b32_e32 v5, v123
	v_pk_add_f32 v[0:1], v[28:29], v[0:1]
	s_mov_b32 s39, s29
	v_pk_mul_f32 v[28:29], v[24:25], s[34:35]
	v_pk_add_f32 v[2:3], v[4:5], v[2:3]
	v_pk_fma_f32 v[4:5], v[94:95], s[38:39], v[28:29] op_sel:[1,0,0] neg_lo:[1,0,0] neg_hi:[1,0,0]
	v_pk_fma_f32 v[124:125], v[78:79], s[38:39], v[28:29]
	v_pk_mul_f32 v[146:147], v[36:37], s[20:21]
	v_mov_b32_e32 v5, v125
	v_pk_mul_f32 v[126:127], v[8:9], s[18:19]
	v_pk_fma_f32 v[148:149], v[22:23], s[42:43], v[146:147] neg_lo:[1,0,0] neg_hi:[1,0,0]
	v_pk_fma_f32 v[150:151], v[82:83], s[42:43], v[146:147]
	v_pk_add_f32 v[6:7], v[4:5], v[2:3]
	v_pk_fma_f32 v[2:3], v[30:31], s[26:27], v[126:127] neg_lo:[1,0,0] neg_hi:[1,0,0]
	v_pk_fma_f32 v[128:129], v[26:27], s[26:27], v[126:127]
	v_pk_mul_f32 v[130:131], v[10:11], s[34:35]
	s_mov_b32 s44, 0x3f7e222b
	v_mov_b32_e32 v149, v151
	v_mov_b32_e32 v3, v129
	v_pk_fma_f32 v[4:5], v[32:33], s[38:39], v[130:131] neg_lo:[1,0,0] neg_hi:[1,0,0]
	v_pk_fma_f32 v[132:133], v[38:39], s[38:39], v[130:131]
	v_pk_mul_f32 v[134:135], v[12:13], s[36:37]
	s_mov_b32 s36, s31
	s_mov_b32 s37, s44
	v_pk_add_f32 v[148:149], v[56:57], v[148:149]
	v_mov_b32_e32 v5, v133
	v_pk_fma_f32 v[136:137], v[34:35], s[22:23], v[134:135] op_sel:[1,0,0] neg_lo:[1,0,0] neg_hi:[1,0,0]
	v_pk_fma_f32 v[138:139], v[58:59], s[22:23], v[134:135]
	s_mov_b32 s45, s31
	v_pk_mul_f32 v[140:141], v[14:15], s[36:37]
	v_pk_add_f32 v[2:3], v[2:3], v[148:149]
	v_mov_b32_e32 v137, v139
	v_pk_fma_f32 v[142:143], v[90:91], s[44:45], v[140:141] op_sel:[1,0,0] neg_lo:[1,0,0] neg_hi:[1,0,0]
	v_pk_fma_f32 v[144:145], v[76:77], s[44:45], v[140:141]
	v_pk_add_f32 v[2:3], v[4:5], v[2:3]
	v_mov_b32_e32 v143, v145
	v_pk_add_f32 v[2:3], v[136:137], v[2:3]
	v_pk_mul_f32 v[136:137], v[24:25], s[0:1]
	v_pk_add_f32 v[2:3], v[142:143], v[2:3]
	v_pk_fma_f32 v[4:5], v[94:95], s[16:17], v[136:137] op_sel:[1,0,0] neg_lo:[1,0,0] neg_hi:[1,0,0]
	v_pk_fma_f32 v[142:143], v[78:79], s[16:17], v[136:137]
	s_mov_b32 s52, 0x3f6f5d39
	v_pk_mul_f32 v[164:165], v[36:37], s[46:47]
	v_mov_b32_e32 v5, v143
	v_pk_mul_f32 v[148:149], v[8:9], s[34:35]
	s_mov_b32 s50, s27
	s_mov_b32 s51, s52
	v_pk_fma_f32 v[22:23], v[22:23], s[30:31], v[164:165] neg_lo:[1,0,0] neg_hi:[1,0,0]
	v_pk_fma_f32 v[166:167], v[82:83], s[30:31], v[164:165]
	v_pk_add_f32 v[4:5], v[4:5], v[2:3]
	v_pk_fma_f32 v[2:3], v[30:31], s[38:39], v[148:149] neg_lo:[1,0,0] neg_hi:[1,0,0]
	v_pk_fma_f32 v[30:31], v[26:27], s[38:39], v[148:149]
	s_mov_b32 s53, s27
	v_pk_mul_f32 v[152:153], v[10:11], s[50:51]
	v_mov_b32_e32 v23, v167
	v_mov_b32_e32 v3, v31
	v_pk_fma_f32 v[32:33], v[32:33], s[52:53], v[152:153] neg_lo:[1,0,0] neg_hi:[1,0,0]
	v_pk_fma_f32 v[154:155], v[38:39], s[52:53], v[152:153]
	v_pk_mul_f32 v[156:157], v[12:13], s[0:1]
	v_pk_add_f32 v[22:23], v[56:57], v[22:23]
	v_mov_b32_e32 v33, v155
	v_pk_fma_f32 v[34:35], v[34:35], s[16:17], v[156:157] op_sel:[1,0,0] neg_lo:[1,0,0] neg_hi:[1,0,0]
	v_pk_fma_f32 v[158:159], v[58:59], s[16:17], v[156:157]
	v_pk_mul_f32 v[160:161], v[14:15], s[20:21]
	v_pk_add_f32 v[2:3], v[2:3], v[22:23]
	v_mov_b32_e32 v35, v159
	v_pk_fma_f32 v[90:91], v[90:91], s[42:43], v[160:161] op_sel:[1,0,0] neg_lo:[1,0,0] neg_hi:[1,0,0]
	v_pk_fma_f32 v[162:163], v[76:77], s[42:43], v[160:161]
	v_pk_add_f32 v[2:3], v[32:33], v[2:3]
	v_pk_mul_f32 v[22:23], v[24:25], s[24:25]
	v_mov_b32_e32 v91, v163
	v_pk_add_f32 v[2:3], v[34:35], v[2:3]
	v_pk_fma_f32 v[32:33], v[94:95], s[40:41], v[22:23] op_sel:[1,0,0] neg_lo:[1,0,0] neg_hi:[1,0,0]
	v_pk_fma_f32 v[34:35], v[78:79], s[40:41], v[22:23]
	s_mov_b32 s50, 0x3f52af12
	v_pk_add_f32 v[2:3], v[90:91], v[2:3]
	v_mov_b32_e32 v33, v35
	s_mov_b32 s46, s43
	s_mov_b32 s47, s50
	v_pk_add_f32 v[2:3], v[32:33], v[2:3]
	s_mov_b32 s51, s43
	v_pk_mul_f32 v[32:33], v[24:25], s[46:47]
	v_pk_fma_f32 v[60:61], v[82:83], s[48:49], v[60:61] neg_lo:[0,0,1] neg_hi:[0,0,1]
	v_pk_fma_f32 v[90:91], v[94:95], s[50:51], v[32:33] op_sel:[1,0,0] neg_lo:[1,0,0] neg_hi:[1,0,0]
	v_pk_fma_f32 v[94:95], v[78:79], s[50:51], v[32:33]
	v_mov_b32_e32 v97, v61
	v_mov_b32_e32 v91, v95
	v_pk_add_f32 v[0:1], v[90:91], v[0:1]
	v_pk_fma_f32 v[90:91], v[26:27], s[42:43], v[110:111] neg_lo:[0,0,1] neg_hi:[0,0,1]
	v_pk_add_f32 v[60:61], v[56:57], v[96:97]
	v_mov_b32_e32 v115, v91
	v_pk_fma_f32 v[90:91], v[38:39], s[30:31], v[100:101] neg_lo:[0,0,1] neg_hi:[0,0,1]
	v_pk_add_f32 v[60:61], v[114:115], v[60:61]
	v_mov_b32_e32 v117, v91
	;; [unrolled: 3-line block ×5, first 2 shown]
	v_pk_add_f32 v[28:29], v[124:125], v[60:61]
	v_pk_fma_f32 v[60:61], v[78:79], s[16:17], v[136:137] neg_lo:[0,0,1] neg_hi:[0,0,1]
	s_barrier
	ds_write2_b64 v93, v[106:107], v[28:29] offset1:17
	v_pk_fma_f32 v[28:29], v[26:27], s[26:27], v[126:127] neg_lo:[0,0,1] neg_hi:[0,0,1]
	v_mov_b32_e32 v143, v61
	v_pk_fma_f32 v[60:61], v[26:27], s[38:39], v[148:149] neg_lo:[0,0,1] neg_hi:[0,0,1]
	v_mov_b32_e32 v129, v29
	;; [unrolled: 2-line block ×10, first 2 shown]
	v_mov_b32_e32 v167, v61
	v_pk_add_f32 v[28:29], v[56:57], v[150:151]
	v_pk_add_f32 v[60:61], v[56:57], v[166:167]
	;; [unrolled: 1-line block ×8, first 2 shown]
	v_pk_fma_f32 v[22:23], v[78:79], s[40:41], v[22:23] neg_lo:[0,0,1] neg_hi:[0,0,1]
	v_pk_add_f32 v[28:29], v[144:145], v[28:29]
	v_pk_add_f32 v[30:31], v[162:163], v[30:31]
	v_mov_b32_e32 v35, v23
	v_pk_fma_f32 v[18:19], v[76:77], s[28:29], v[18:19] neg_lo:[0,0,1] neg_hi:[0,0,1]
	v_pk_add_f32 v[28:29], v[142:143], v[28:29]
	v_pk_add_f32 v[22:23], v[34:35], v[30:31]
	v_mov_b32_e32 v17, v19
	v_pk_fma_f32 v[18:19], v[82:83], s[26:27], v[98:99] neg_lo:[0,0,1] neg_hi:[0,0,1]
	ds_write2_b64 v93, v[28:29], v[22:23] offset0:34 offset1:51
	v_pk_fma_f32 v[22:23], v[26:27], s[22:23], v[84:85] neg_lo:[0,0,1] neg_hi:[0,0,1]
	v_mov_b32_e32 v103, v19
	v_mov_b32_e32 v81, v23
	v_pk_fma_f32 v[22:23], v[38:39], s[16:17], v[88:89] neg_lo:[0,0,1] neg_hi:[0,0,1]
	v_pk_add_f32 v[18:19], v[56:57], v[102:103]
	v_mov_b32_e32 v87, v23
	v_pk_fma_f32 v[22:23], v[58:59], s[30:31], v[108:109] neg_lo:[0,0,1] neg_hi:[0,0,1]
	v_pk_add_f32 v[18:19], v[80:81], v[18:19]
	v_mov_b32_e32 v105, v23
	v_pk_add_f32 v[18:19], v[86:87], v[18:19]
	v_pk_mul_f32 v[30:31], v[38:39], s[42:43]
	v_pk_add_f32 v[18:19], v[104:105], v[18:19]
	v_pk_fma_f32 v[34:35], v[10:11], s[20:21], v[30:31] neg_lo:[1,0,0] neg_hi:[1,0,0]
	v_pk_add_f32 v[16:17], v[16:17], v[18:19]
	v_pk_fma_f32 v[18:19], v[78:79], s[50:51], v[32:33] neg_lo:[0,0,1] neg_hi:[0,0,1]
	v_pk_fma_f32 v[32:33], v[10:11], s[20:21], v[30:31]
	v_mov_b32_e32 v95, v19
	v_pk_add_f32 v[16:17], v[94:95], v[16:17]
	v_pk_mul_f32 v[94:95], v[82:83], s[40:41]
	v_pk_mul_f32 v[18:19], v[26:27], s[44:45]
	v_pk_fma_f32 v[96:97], v[36:37], s[24:25], v[94:95]
	v_pk_fma_f32 v[98:99], v[36:37], s[24:25], v[94:95] neg_lo:[1,0,0] neg_hi:[1,0,0]
	v_pk_fma_f32 v[22:23], v[8:9], s[36:37], v[18:19]
	v_pk_fma_f32 v[28:29], v[8:9], s[36:37], v[18:19] neg_lo:[1,0,0] neg_hi:[1,0,0]
	v_mov_b32_e32 v98, v96
	v_mov_b32_e32 v28, v22
	v_pk_mul_f32 v[60:61], v[58:59], s[28:29]
	v_pk_add_f32 v[98:99], v[56:57], v[98:99]
	v_mov_b32_e32 v34, v32
	v_pk_fma_f32 v[80:81], v[12:13], s[6:7], v[60:61]
	v_pk_fma_f32 v[84:85], v[12:13], s[6:7], v[60:61] neg_lo:[1,0,0] neg_hi:[1,0,0]
	v_pk_mul_f32 v[86:87], v[76:77], s[16:17]
	v_pk_add_f32 v[28:29], v[28:29], v[98:99]
	v_mov_b32_e32 v84, v80
	v_pk_fma_f32 v[88:89], v[14:15], s[0:1], v[86:87]
	v_pk_fma_f32 v[90:91], v[14:15], s[0:1], v[86:87] neg_lo:[1,0,0] neg_hi:[1,0,0]
	v_pk_add_f32 v[28:29], v[34:35], v[28:29]
	v_mov_b32_e32 v90, v88
	v_pk_add_f32 v[28:29], v[84:85], v[28:29]
	v_pk_mul_f32 v[34:35], v[78:79], s[26:27]
	v_pk_add_f32 v[28:29], v[90:91], v[28:29]
	v_pk_fma_f32 v[84:85], v[24:25], s[18:19], v[34:35]
	v_pk_fma_f32 v[90:91], v[24:25], s[18:19], v[34:35] neg_lo:[1,0,0] neg_hi:[1,0,0]
	v_pk_mul_f32 v[38:39], v[38:39], s[40:41]
	v_mov_b32_e32 v90, v84
	v_pk_add_f32 v[28:29], v[90:91], v[28:29]
	ds_write2_b64 v93, v[16:17], v[28:29] offset0:68 offset1:85
	v_pk_mul_f32 v[16:17], v[26:27], s[16:17]
	v_pk_mul_f32 v[58:59], v[58:59], s[50:51]
	v_pk_fma_f32 v[26:27], v[8:9], s[0:1], v[16:17]
	v_pk_fma_f32 v[28:29], v[8:9], s[0:1], v[16:17] neg_lo:[1,0,0] neg_hi:[1,0,0]
	v_pk_mul_f32 v[76:77], v[76:77], s[26:27]
	v_pk_mul_f32 v[82:83], v[82:83], s[38:39]
	v_pk_fma_f32 v[16:17], v[8:9], s[0:1], v[16:17] neg_lo:[0,0,1] neg_hi:[0,0,1]
	v_mov_b32_e32 v28, v26
	v_pk_fma_f32 v[90:91], v[10:11], s[24:25], v[38:39]
	v_pk_fma_f32 v[98:99], v[10:11], s[24:25], v[38:39] neg_lo:[1,0,0] neg_hi:[1,0,0]
	v_pk_fma_f32 v[100:101], v[12:13], s[46:47], v[58:59]
	v_pk_fma_f32 v[102:103], v[12:13], s[46:47], v[58:59] neg_lo:[1,0,0] neg_hi:[1,0,0]
	v_pk_fma_f32 v[104:105], v[14:15], s[18:19], v[76:77]
	v_pk_fma_f32 v[106:107], v[14:15], s[18:19], v[76:77] neg_lo:[1,0,0] neg_hi:[1,0,0]
	v_pk_fma_f32 v[108:109], v[36:37], s[34:35], v[82:83]
	v_pk_fma_f32 v[110:111], v[36:37], s[34:35], v[82:83] neg_lo:[1,0,0] neg_hi:[1,0,0]
	v_mov_b32_e32 v17, v27
	v_pk_fma_f32 v[26:27], v[10:11], s[24:25], v[38:39] neg_lo:[0,0,1] neg_hi:[0,0,1]
	v_pk_fma_f32 v[38:39], v[12:13], s[46:47], v[58:59] neg_lo:[0,0,1] neg_hi:[0,0,1]
	;; [unrolled: 1-line block ×4, first 2 shown]
	v_mov_b32_e32 v110, v108
	v_mov_b32_e32 v77, v109
	v_pk_add_f32 v[110:111], v[56:57], v[110:111]
	v_pk_add_f32 v[76:77], v[56:57], v[76:77]
	v_mov_b32_e32 v98, v90
	v_pk_add_f32 v[28:29], v[28:29], v[110:111]
	v_mov_b32_e32 v27, v91
	;; [unrolled: 2-line block ×3, first 2 shown]
	v_pk_add_f32 v[28:29], v[98:99], v[28:29]
	v_pk_mul_f32 v[78:79], v[78:79], s[44:45]
	v_mov_b32_e32 v39, v101
	v_pk_add_f32 v[16:17], v[26:27], v[16:17]
	v_mov_b32_e32 v106, v104
	v_pk_add_f32 v[28:29], v[102:103], v[28:29]
	v_pk_fma_f32 v[98:99], v[24:25], s[36:37], v[78:79]
	v_pk_fma_f32 v[102:103], v[24:25], s[36:37], v[78:79] neg_lo:[1,0,0] neg_hi:[1,0,0]
	v_mov_b32_e32 v59, v105
	v_pk_add_f32 v[16:17], v[38:39], v[16:17]
	v_pk_fma_f32 v[26:27], v[24:25], s[36:37], v[78:79] neg_lo:[0,0,1] neg_hi:[0,0,1]
	v_pk_add_f32 v[28:29], v[106:107], v[28:29]
	v_mov_b32_e32 v102, v98
	v_pk_add_f32 v[16:17], v[58:59], v[16:17]
	v_mov_b32_e32 v27, v99
	v_pk_add_f32 v[28:29], v[102:103], v[28:29]
	v_pk_add_f32 v[16:17], v[26:27], v[16:17]
	ds_write2_b64 v93, v[28:29], v[16:17] offset0:102 offset1:119
	v_pk_fma_f32 v[16:17], v[36:37], s[24:25], v[94:95] neg_lo:[0,0,1] neg_hi:[0,0,1]
	v_pk_fma_f32 v[8:9], v[8:9], s[36:37], v[18:19] neg_lo:[0,0,1] neg_hi:[0,0,1]
	v_mov_b32_e32 v17, v97
	v_mov_b32_e32 v9, v23
	v_pk_fma_f32 v[10:11], v[10:11], s[20:21], v[30:31] neg_lo:[0,0,1] neg_hi:[0,0,1]
	v_pk_add_f32 v[16:17], v[56:57], v[16:17]
	v_mov_b32_e32 v11, v33
	v_pk_fma_f32 v[12:13], v[12:13], s[6:7], v[60:61] neg_lo:[0,0,1] neg_hi:[0,0,1]
	v_pk_add_f32 v[8:9], v[8:9], v[16:17]
	;; [unrolled: 3-line block ×3, first 2 shown]
	v_mov_b32_e32 v15, v89
	v_pk_add_f32 v[8:9], v[12:13], v[8:9]
	v_pk_fma_f32 v[10:11], v[24:25], s[18:19], v[34:35] neg_lo:[0,0,1] neg_hi:[0,0,1]
	v_pk_add_f32 v[8:9], v[14:15], v[8:9]
	v_mov_b32_e32 v11, v85
	v_pk_add_f32 v[8:9], v[10:11], v[8:9]
	v_add_u32_e32 v23, 0xd00, v92
	v_add_u32_e32 v22, 0x1b00, v92
	v_add_u32_e32 v21, 0x2900, v92
	ds_write2_b64 v93, v[8:9], v[0:1] offset0:136 offset1:153
	ds_write2_b64 v93, v[2:3], v[4:5] offset0:170 offset1:187
	ds_write_b64 v93, v[6:7] offset:1632
	s_waitcnt lgkmcnt(0)
	s_barrier
	ds_read2_b64 v[8:11], v92 offset1:221
	ds_read2_b64 v[36:39], v23 offset0:26 offset1:247
	ds_read2_b64 v[24:27], v22 offset0:20 offset1:241
	;; [unrolled: 1-line block ×3, first 2 shown]
	ds_read_b64 v[16:17], v92 offset:14144
	v_mov_b32_e32 v74, v52
	v_mov_b32_e32 v75, v52
	;; [unrolled: 1-line block ×24, first 2 shown]
	s_and_saveexec_b64 s[0:1], s[2:3]
	s_cbranch_execz .LBB0_19
; %bb.18:
	v_add_u32_e32 v0, 0x400, v92
	v_add_u32_e32 v4, 0x1200, v92
	;; [unrolled: 1-line block ×3, first 2 shown]
	ds_read2_b64 v[0:3], v0 offset0:25 offset1:246
	ds_read2_b64 v[28:31], v5 offset0:13 offset1:234
	;; [unrolled: 1-line block ×4, first 2 shown]
	ds_read_b64 a[20:21], v92 offset:15368
	s_waitcnt lgkmcnt(3)
	v_accvgpr_write_b32 a24, v30
	s_waitcnt lgkmcnt(2)
	v_accvgpr_mov_b32 a22, a26
	v_accvgpr_mov_b32 a23, a27
	v_accvgpr_write_b32 a26, v28
	v_accvgpr_write_b32 a25, v31
	;; [unrolled: 1-line block ×3, first 2 shown]
.LBB0_19:
	s_or_b64 exec, exec, s[0:1]
	s_waitcnt lgkmcnt(4)
	v_pk_mul_f32 v[28:29], v[52:53], v[10:11]
	s_waitcnt lgkmcnt(3)
	v_pk_mul_f32 v[30:31], v[54:55], v[36:37]
	v_pk_mul_f32 v[32:33], v[48:49], v[38:39]
	s_waitcnt lgkmcnt(2)
	v_pk_mul_f32 v[34:35], v[50:51], v[24:25]
	v_pk_fma_f32 v[48:49], v[74:75], v[10:11], v[28:29] op_sel:[0,0,1] op_sel_hi:[1,1,0]
	v_pk_fma_f32 v[10:11], v[74:75], v[10:11], v[28:29] op_sel:[0,0,1] op_sel_hi:[1,1,0] neg_lo:[0,0,1] neg_hi:[0,0,1]
	v_pk_fma_f32 v[28:29], v[72:73], v[36:37], v[30:31] op_sel:[0,0,1] op_sel_hi:[1,1,0]
	v_pk_fma_f32 v[30:31], v[72:73], v[36:37], v[30:31] op_sel:[0,0,1] op_sel_hi:[1,1,0] neg_lo:[0,0,1] neg_hi:[0,0,1]
	;; [unrolled: 2-line block ×3, first 2 shown]
	v_pk_mul_f32 v[44:45], v[44:45], v[26:27]
	v_mov_b32_e32 v37, v33
	v_pk_fma_f32 v[32:33], v[68:69], v[24:25], v[34:35] op_sel:[0,0,1] op_sel_hi:[1,1,0]
	v_pk_fma_f32 v[24:25], v[68:69], v[24:25], v[34:35] op_sel:[0,0,1] op_sel_hi:[1,1,0] neg_lo:[0,0,1] neg_hi:[0,0,1]
	s_waitcnt lgkmcnt(1)
	v_pk_mul_f32 v[46:47], v[46:47], v[12:13]
	v_mov_b32_e32 v33, v25
	v_pk_fma_f32 v[24:25], v[66:67], v[26:27], v[44:45] op_sel:[0,0,1] op_sel_hi:[1,1,0]
	v_pk_fma_f32 v[26:27], v[66:67], v[26:27], v[44:45] op_sel:[0,0,1] op_sel_hi:[1,1,0] neg_lo:[0,0,1] neg_hi:[0,0,1]
	v_pk_mul_f32 v[40:41], v[40:41], v[14:15]
	v_mov_b32_e32 v25, v27
	v_pk_fma_f32 v[26:27], v[64:65], v[12:13], v[46:47] op_sel:[0,0,1] op_sel_hi:[1,1,0]
	v_pk_fma_f32 v[12:13], v[64:65], v[12:13], v[46:47] op_sel:[0,0,1] op_sel_hi:[1,1,0] neg_lo:[0,0,1] neg_hi:[0,0,1]
	s_waitcnt lgkmcnt(0)
	v_pk_mul_f32 v[42:43], v[42:43], v[16:17]
	v_mov_b32_e32 v27, v13
	v_pk_fma_f32 v[12:13], v[62:63], v[14:15], v[40:41] op_sel:[0,0,1] op_sel_hi:[1,1,0]
	v_pk_fma_f32 v[14:15], v[62:63], v[14:15], v[40:41] op_sel:[0,0,1] op_sel_hi:[1,1,0] neg_lo:[0,0,1] neg_hi:[0,0,1]
	v_mov_b32_e32 v29, v31
	v_mov_b32_e32 v13, v15
	v_pk_fma_f32 v[34:35], v[18:19], v[16:17], v[42:43] op_sel:[0,0,1] op_sel_hi:[1,1,0]
	v_pk_fma_f32 v[16:17], v[18:19], v[16:17], v[42:43] op_sel:[0,0,1] op_sel_hi:[1,1,0] neg_lo:[0,0,1] neg_hi:[0,0,1]
	s_mov_b32 s22, 0x3f248dbb
	v_mov_b32_e32 v35, v17
	v_pk_add_f32 v[38:39], v[28:29], v[12:13]
	v_mov_b32_e32 v16, v17
	v_mov_b32_e32 v17, v12
	;; [unrolled: 1-line block ×6, first 2 shown]
	s_mov_b32 s23, 0x3f7c1c5c
	v_mov_b32_e32 v49, v11
	v_mov_b32_e32 v10, v11
	;; [unrolled: 1-line block ×3, first 2 shown]
	v_pk_add_f32 v[12:13], v[12:13], v[14:15] neg_lo:[0,1] neg_hi:[0,1]
	s_mov_b32 s24, s23
	s_mov_b32 s25, s22
	v_pk_add_f32 v[10:11], v[10:11], v[16:17] neg_lo:[0,1] neg_hi:[0,1]
	v_pk_add_f32 v[14:15], v[36:37], v[26:27] neg_lo:[0,1] neg_hi:[0,1]
	s_mov_b32 s6, 0x3f5db3d7
	v_pk_mul_f32 v[16:17], v[12:13], s[24:25]
	v_pk_add_f32 v[18:19], v[48:49], v[34:35]
	v_pk_add_f32 v[40:41], v[36:37], v[26:27]
	v_pk_mul_f32 v[14:15], v[14:15], s[6:7] op_sel_hi:[1,0]
	v_pk_fma_f32 v[16:17], v[10:11], s[22:23], v[16:17]
	v_pk_add_f32 v[26:27], v[32:33], v[24:25] neg_lo:[0,1] neg_hi:[0,1]
	s_mov_b32 s0, 0x3eaf1d44
	v_pk_add_f32 v[42:43], v[38:39], v[18:19]
	v_pk_add_f32 v[16:17], v[14:15], v[16:17] op_sel:[1,0] op_sel_hi:[0,1]
	v_pk_mul_f32 v[28:29], v[26:27], s[0:1] op_sel_hi:[1,0]
	s_mov_b32 s18, 0x3f441b7d
	v_pk_add_f32 v[44:45], v[40:41], v[42:43]
	v_pk_add_f32 v[16:17], v[28:29], v[16:17] op_sel:[1,0] op_sel_hi:[0,1]
	v_pk_fma_f32 v[28:29], v[18:19], s[18:19], v[8:9] op_sel_hi:[1,0,1]
	s_mov_b32 s16, 0x3e31d0d4
	v_pk_add_f32 v[44:45], v[32:33], v[44:45]
	v_pk_fma_f32 v[28:29], v[38:39], s[16:17], v[28:29] op_sel_hi:[1,0,1]
	v_pk_add_f32 v[44:45], v[24:25], v[44:45]
	v_pk_fma_f32 v[28:29], v[40:41], 0.5, v[28:29] op_sel_hi:[1,0,1] neg_lo:[1,0,0] neg_hi:[1,0,0]
	v_pk_add_f32 v[24:25], v[32:33], v[24:25]
	s_mov_b32 s20, 0x3f708fb2
	v_pk_fma_f32 v[28:29], v[24:25], s[20:21], v[28:29] op_sel_hi:[1,0,1] neg_lo:[1,0,0] neg_hi:[1,0,0]
	v_pk_add_f32 v[44:45], v[44:45], v[8:9]
	v_pk_add_f32 v[30:31], v[28:29], v[16:17] neg_lo:[0,1] neg_hi:[0,1]
	v_pk_add_f32 v[28:29], v[28:29], v[16:17]
	s_mov_b32 s26, s23
	v_mov_b32_e32 v31, v29
	v_fma_f32 v28, 2.0, v16, v30
	v_fmac_f32_e32 v29, -2.0, v17
	ds_write2_b64 v92, v[44:45], v[30:31] offset1:221
	v_pk_mul_f32 v[16:17], v[26:27], s[22:23] op_sel_hi:[1,0]
	v_mov_b32_e32 v30, v10
	v_mov_b32_e32 v31, v13
	v_pk_fma_f32 v[34:35], v[24:25], s[18:19], v[8:9] op_sel_hi:[1,0,1]
	v_pk_fma_f32 v[16:17], v[30:31], s[26:27], v[16:17] op_sel:[0,0,1] op_sel_hi:[1,0,0] neg_lo:[0,0,1] neg_hi:[0,0,1]
	v_pk_fma_f32 v[34:35], v[18:19], s[16:17], v[34:35] op_sel_hi:[1,0,1]
	v_pk_add_f32 v[16:17], v[16:17], v[14:15] op_sel:[0,1] op_sel_hi:[1,0] neg_lo:[0,1] neg_hi:[0,1]
	v_mov_b32_e32 v32, v12
	v_mov_b32_e32 v33, v11
	v_pk_fma_f32 v[34:35], v[40:41], 0.5, v[34:35] op_sel_hi:[1,0,1] neg_lo:[1,0,0] neg_hi:[1,0,0]
	v_pk_fma_f32 v[16:17], v[32:33], s[0:1], v[16:17] op_sel_hi:[1,0,1]
	v_pk_fma_f32 v[34:35], v[38:39], s[20:21], v[34:35] op_sel_hi:[1,0,1] neg_lo:[1,0,0] neg_hi:[1,0,0]
	v_mov_b32_e32 v44, v13
	v_mov_b32_e32 v45, v10
	v_pk_add_f32 v[36:37], v[34:35], v[16:17] neg_lo:[0,1] neg_hi:[0,1]
	v_pk_add_f32 v[34:35], v[34:35], v[16:17]
	v_pk_add_f32 v[44:45], v[26:27], v[44:45]
	v_mov_b32_e32 v10, v11
	v_mov_b32_e32 v11, v12
	v_fma_f32 v34, 2.0, v16, v36
	v_mov_b32_e32 v37, v35
	v_fmac_f32_e32 v35, -2.0, v17
	v_pk_add_f32 v[16:17], v[40:41], v[8:9]
	v_pk_add_f32 v[10:11], v[44:45], v[10:11] neg_lo:[0,1] neg_hi:[0,1]
	v_pk_add_f32 v[12:13], v[24:25], v[42:43]
	v_pk_mul_f32 v[10:11], v[10:11], s[6:7] op_sel_hi:[1,0]
	v_pk_fma_f32 v[12:13], v[12:13], 0.5, v[16:17] op_sel_hi:[1,0,1] neg_lo:[1,0,0] neg_hi:[1,0,0]
	v_pk_fma_f32 v[8:9], v[38:39], s[18:19], v[8:9] op_sel_hi:[1,0,1]
	v_pk_add_f32 v[16:17], v[12:13], v[10:11] op_sel:[0,1] op_sel_hi:[1,0] neg_lo:[0,1] neg_hi:[0,1]
	v_pk_add_f32 v[12:13], v[12:13], v[10:11] op_sel:[0,1] op_sel_hi:[1,0]
	s_mov_b32 s28, 0xbf248dbb
	v_fma_f32 v12, 2.0, v11, v16
	v_mov_b32_e32 v17, v13
	v_fmac_f32_e32 v13, -2.0, v10
	v_pk_mul_f32 v[10:11], v[26:27], s[26:27] op_sel_hi:[1,0]
	v_pk_fma_f32 v[8:9], v[24:25], s[16:17], v[8:9] op_sel_hi:[1,0,1]
	v_pk_fma_f32 v[10:11], v[32:33], s[28:29], v[10:11] op_sel:[0,0,1] op_sel_hi:[1,0,0] neg_lo:[0,0,1] neg_hi:[0,0,1]
	v_pk_fma_f32 v[8:9], v[40:41], 0.5, v[8:9] op_sel_hi:[1,0,1] neg_lo:[1,0,0] neg_hi:[1,0,0]
	v_pk_add_f32 v[10:11], v[14:15], v[10:11] op_sel:[1,0] op_sel_hi:[0,1]
	v_pk_fma_f32 v[10:11], v[30:31], s[0:1], v[10:11] op_sel_hi:[1,0,1]
	v_pk_fma_f32 v[8:9], v[18:19], s[20:21], v[8:9] op_sel_hi:[1,0,1] neg_lo:[1,0,0] neg_hi:[1,0,0]
	ds_write2_b64 v23, v[36:37], v[16:17] offset0:26 offset1:247
	v_pk_add_f32 v[14:15], v[8:9], v[10:11] neg_lo:[0,1] neg_hi:[0,1]
	v_pk_add_f32 v[8:9], v[8:9], v[10:11]
	s_nop 0
	v_fma_f32 v8, 2.0, v10, v14
	v_mov_b32_e32 v15, v9
	v_fmac_f32_e32 v9, -2.0, v11
	ds_write2_b64 v22, v[14:15], v[8:9] offset0:20 offset1:241
	ds_write2_b64 v21, v[12:13], v[34:35] offset0:14 offset1:235
	ds_write_b64 v92, v[28:29] offset:14144
	s_and_saveexec_b64 s[26:27], s[2:3]
	s_cbranch_execz .LBB0_21
; %bb.20:
	v_accvgpr_read_b32 v39, a15
	v_accvgpr_read_b32 v27, a21
	;; [unrolled: 1-line block ×7, first 2 shown]
	v_mov_b32_e32 v10, v27
	v_accvgpr_read_b32 v42, a18
	v_accvgpr_read_b32 v31, a7
	;; [unrolled: 1-line block ×4, first 2 shown]
	v_pk_mul_f32 v[8:9], v[36:37], v[2:3] op_sel:[0,1]
	v_accvgpr_read_b32 v26, a20
	v_pk_mul_f32 v[10:11], v[42:43], v[10:11] op_sel_hi:[1,0]
	v_accvgpr_read_b32 v29, a5
	v_accvgpr_read_b32 v28, a4
	v_pk_mul_f32 v[14:15], v[34:35], v[44:45] op_sel:[0,1]
	v_accvgpr_read_b32 v51, a29
	v_accvgpr_read_b32 v38, a14
	;; [unrolled: 1-line block ×4, first 2 shown]
	v_pk_mul_f32 v[12:13], v[28:29], v[6:7] op_sel:[0,1]
	v_accvgpr_read_b32 v50, a28
	v_accvgpr_read_b32 v47, a25
	v_pk_fma_f32 v[24:25], v[42:43], v[26:27], v[10:11] op_sel:[0,0,1] op_sel_hi:[1,1,0]
	v_pk_fma_f32 v[10:11], v[42:43], v[26:27], v[10:11] op_sel:[0,0,1] op_sel_hi:[1,0,0] neg_lo:[1,0,0] neg_hi:[1,0,0]
	v_pk_fma_f32 v[26:27], v[36:37], v[2:3], v[8:9] op_sel:[0,0,1] op_sel_hi:[1,1,0]
	v_pk_fma_f32 v[2:3], v[36:37], v[2:3], v[8:9] op_sel:[0,0,1] op_sel_hi:[1,0,0] neg_lo:[1,0,0] neg_hi:[1,0,0]
	;; [unrolled: 2-line block ×3, first 2 shown]
	v_accvgpr_read_b32 v33, a9
	v_accvgpr_read_b32 v32, a8
	v_pk_mul_f32 v[16:17], v[38:39], v[4:5] op_sel:[0,1]
	v_pk_mul_f32 v[18:19], v[40:41], v[50:51] op_sel:[0,1]
	v_accvgpr_read_b32 v49, a27
	v_accvgpr_read_b32 v46, a24
	v_mov_b32_e32 v9, v15
	v_pk_fma_f32 v[14:15], v[28:29], v[6:7], v[12:13] op_sel:[0,0,1] op_sel_hi:[1,1,0]
	v_pk_fma_f32 v[6:7], v[28:29], v[6:7], v[12:13] op_sel:[0,0,1] op_sel_hi:[1,0,0] neg_lo:[1,0,0] neg_hi:[1,0,0]
	v_accvgpr_read_b32 v30, a6
	v_accvgpr_read_b32 v48, a26
	v_pk_mul_f32 v[22:23], v[32:33], v[46:47] op_sel:[0,1]
	v_mov_b32_e32 v15, v7
	v_pk_fma_f32 v[6:7], v[40:41], v[50:51], v[18:19] op_sel:[0,0,1] op_sel_hi:[1,1,0]
	v_pk_fma_f32 v[12:13], v[40:41], v[50:51], v[18:19] op_sel:[0,0,1] op_sel_hi:[1,0,0] neg_lo:[1,0,0] neg_hi:[1,0,0]
	v_pk_fma_f32 v[18:19], v[38:39], v[4:5], v[16:17] op_sel:[0,0,1] op_sel_hi:[1,1,0]
	v_pk_fma_f32 v[4:5], v[38:39], v[4:5], v[16:17] op_sel:[0,0,1] op_sel_hi:[1,0,0] neg_lo:[1,0,0] neg_hi:[1,0,0]
	v_pk_mul_f32 v[20:21], v[30:31], v[48:49] op_sel:[0,1]
	v_mov_b32_e32 v7, v13
	v_mov_b32_e32 v19, v5
	v_pk_fma_f32 v[16:17], v[32:33], v[46:47], v[22:23] op_sel:[0,0,1] op_sel_hi:[1,1,0]
	v_pk_fma_f32 v[22:23], v[32:33], v[46:47], v[22:23] op_sel:[0,0,1] op_sel_hi:[1,0,0] neg_lo:[1,0,0] neg_hi:[1,0,0]
	v_mov_b32_e32 v4, v5
	v_mov_b32_e32 v5, v26
	v_mov_b32_e32 v12, v13
	v_mov_b32_e32 v13, v24
	v_mov_b32_e32 v25, v11
	v_mov_b32_e32 v27, v3
	v_mov_b32_e32 v17, v23
	v_pk_fma_f32 v[22:23], v[30:31], v[48:49], v[20:21] op_sel:[0,0,1] op_sel_hi:[1,1,0]
	v_pk_fma_f32 v[20:21], v[30:31], v[48:49], v[20:21] op_sel:[0,0,1] op_sel_hi:[1,0,0] neg_lo:[1,0,0] neg_hi:[1,0,0]
	v_pk_add_f32 v[4:5], v[4:5], v[12:13] neg_lo:[0,1] neg_hi:[0,1]
	v_mov_b32_e32 v2, v3
	v_mov_b32_e32 v3, v18
	;; [unrolled: 1-line block ×5, first 2 shown]
	v_pk_add_f32 v[28:29], v[8:9], v[14:15]
	v_pk_add_f32 v[2:3], v[2:3], v[10:11] neg_lo:[0,1] neg_hi:[0,1]
	v_pk_add_f32 v[8:9], v[14:15], v[8:9] neg_lo:[0,1] neg_hi:[0,1]
	v_pk_mul_f32 v[12:13], v[4:5], s[24:25]
	v_pk_add_f32 v[20:21], v[6:7], v[18:19]
	v_pk_add_f32 v[6:7], v[22:23], v[16:17] neg_lo:[0,1] neg_hi:[0,1]
	v_pk_mul_f32 v[8:9], v[8:9], s[6:7] op_sel_hi:[1,0]
	v_pk_fma_f32 v[12:13], v[2:3], s[22:23], v[12:13]
	v_pk_add_f32 v[30:31], v[24:25], v[26:27]
	v_pk_add_f32 v[12:13], v[8:9], v[12:13] op_sel:[1,0] op_sel_hi:[0,1]
	v_pk_mul_f32 v[14:15], v[6:7], s[0:1] op_sel_hi:[1,0]
	v_pk_add_f32 v[32:33], v[20:21], v[30:31]
	v_pk_add_f32 v[12:13], v[14:15], v[12:13] op_sel:[1,0] op_sel_hi:[0,1]
	v_pk_fma_f32 v[14:15], v[30:31], s[18:19], v[0:1] op_sel_hi:[1,0,1]
	v_pk_add_f32 v[34:35], v[28:29], v[32:33]
	v_pk_fma_f32 v[14:15], v[20:21], s[16:17], v[14:15] op_sel_hi:[1,0,1]
	v_pk_add_f32 v[10:11], v[16:17], v[22:23]
	v_pk_fma_f32 v[14:15], v[28:29], 0.5, v[14:15] op_sel_hi:[1,0,1] neg_lo:[1,0,0] neg_hi:[1,0,0]
	v_pk_add_f32 v[34:35], v[22:23], v[34:35]
	v_pk_fma_f32 v[14:15], v[10:11], s[20:21], v[14:15] op_sel_hi:[1,0,1] neg_lo:[1,0,0] neg_hi:[1,0,0]
	v_pk_add_f32 v[34:35], v[16:17], v[34:35]
	v_pk_add_f32 v[16:17], v[14:15], v[12:13] neg_lo:[0,1] neg_hi:[0,1]
	v_pk_add_f32 v[14:15], v[14:15], v[12:13]
	v_mov_b32_e32 v18, v16
	v_pk_add_f32 v[34:35], v[0:1], v[34:35]
	v_mov_b32_e32 v17, v15
	v_fmac_f32_e32 v18, 2.0, v12
	v_add_u32_e32 v12, 0x400, v92
	v_fma_f32 v19, -2.0, v13, v15
	ds_write2_b64 v12, v[34:35], v[16:17] offset0:25 offset1:246
	v_mov_b32_e32 v14, v2
	v_mov_b32_e32 v15, v5
	s_mov_b32 s2, s23
	v_pk_mul_f32 v[16:17], v[6:7], s[22:23] op_sel_hi:[1,0]
	v_pk_fma_f32 v[22:23], v[10:11], s[18:19], v[0:1] op_sel_hi:[1,0,1]
	v_pk_fma_f32 v[16:17], v[14:15], s[2:3], v[16:17] op_sel:[0,0,1] op_sel_hi:[1,0,0] neg_lo:[0,0,1] neg_hi:[0,0,1]
	v_pk_fma_f32 v[22:23], v[30:31], s[16:17], v[22:23] op_sel_hi:[1,0,1]
	v_mov_b32_e32 v12, v4
	v_mov_b32_e32 v13, v3
	v_pk_add_f32 v[16:17], v[16:17], v[8:9] op_sel:[0,1] op_sel_hi:[1,0] neg_lo:[0,1] neg_hi:[0,1]
	v_pk_fma_f32 v[22:23], v[28:29], 0.5, v[22:23] op_sel_hi:[1,0,1] neg_lo:[1,0,0] neg_hi:[1,0,0]
	v_pk_fma_f32 v[16:17], v[12:13], s[0:1], v[16:17] op_sel_hi:[1,0,1]
	v_pk_fma_f32 v[22:23], v[20:21], s[20:21], v[22:23] op_sel_hi:[1,0,1] neg_lo:[1,0,0] neg_hi:[1,0,0]
	s_nop 0
	v_pk_add_f32 v[24:25], v[22:23], v[16:17] neg_lo:[0,1] neg_hi:[0,1]
	v_pk_add_f32 v[22:23], v[22:23], v[16:17]
	v_mov_b32_e32 v26, v24
	v_fma_f32 v27, -2.0, v17, v23
	v_mov_b32_e32 v25, v23
	v_mov_b32_e32 v22, v5
	;; [unrolled: 1-line block ×3, first 2 shown]
	v_pk_add_f32 v[22:23], v[6:7], v[22:23]
	v_mov_b32_e32 v2, v3
	v_mov_b32_e32 v3, v4
	v_fmac_f32_e32 v26, 2.0, v16
	v_pk_add_f32 v[16:17], v[28:29], v[0:1]
	v_pk_add_f32 v[2:3], v[22:23], v[2:3] neg_lo:[0,1] neg_hi:[0,1]
	v_pk_add_f32 v[4:5], v[10:11], v[32:33]
	v_pk_mul_f32 v[2:3], v[2:3], s[6:7] op_sel_hi:[1,0]
	v_pk_fma_f32 v[4:5], v[4:5], 0.5, v[16:17] op_sel_hi:[1,0,1] neg_lo:[1,0,0] neg_hi:[1,0,0]
	v_pk_fma_f32 v[0:1], v[20:21], s[18:19], v[0:1] op_sel_hi:[1,0,1]
	v_pk_add_f32 v[16:17], v[4:5], v[2:3] op_sel:[0,1] op_sel_hi:[1,0] neg_lo:[0,1] neg_hi:[0,1]
	v_pk_add_f32 v[4:5], v[4:5], v[2:3] op_sel:[0,1] op_sel_hi:[1,0]
	v_mov_b32_e32 v22, v16
	v_fma_f32 v23, -2.0, v2, v5
	v_mov_b32_e32 v17, v5
	v_add_u32_e32 v2, 0x1200, v92
	v_fmac_f32_e32 v22, 2.0, v3
	ds_write2_b64 v2, v[24:25], v[16:17] offset0:19 offset1:240
	v_pk_mul_f32 v[2:3], v[6:7], s[2:3] op_sel_hi:[1,0]
	v_pk_fma_f32 v[0:1], v[10:11], s[16:17], v[0:1] op_sel_hi:[1,0,1]
	v_pk_fma_f32 v[2:3], v[12:13], s[28:29], v[2:3] op_sel:[0,0,1] op_sel_hi:[1,0,0] neg_lo:[0,0,1] neg_hi:[0,0,1]
	v_pk_fma_f32 v[0:1], v[28:29], 0.5, v[0:1] op_sel_hi:[1,0,1] neg_lo:[1,0,0] neg_hi:[1,0,0]
	v_pk_add_f32 v[2:3], v[8:9], v[2:3] op_sel:[1,0] op_sel_hi:[0,1]
	v_pk_fma_f32 v[2:3], v[14:15], s[0:1], v[2:3] op_sel_hi:[1,0,1]
	v_pk_fma_f32 v[0:1], v[30:31], s[20:21], v[0:1] op_sel_hi:[1,0,1] neg_lo:[1,0,0] neg_hi:[1,0,0]
	s_nop 0
	v_pk_add_f32 v[4:5], v[0:1], v[2:3] neg_lo:[0,1] neg_hi:[0,1]
	v_pk_add_f32 v[0:1], v[0:1], v[2:3]
	v_mov_b32_e32 v6, v4
	v_fma_f32 v7, -2.0, v3, v1
	v_mov_b32_e32 v5, v1
	v_fmac_f32_e32 v6, 2.0, v2
	v_add_u32_e32 v0, 0x2000, v92
	ds_write2_b64 v0, v[4:5], v[6:7] offset0:13 offset1:234
	v_add_u32_e32 v0, 0x2e00, v92
	ds_write2_b64 v0, v[22:23], v[26:27] offset0:7 offset1:228
	ds_write_b64 v92, v[18:19] offset:15368
.LBB0_21:
	s_or_b64 exec, exec, s[26:27]
	s_and_b64 s[0:1], exec, s[4:5]
	v_accvgpr_read_b32 v14, a0
	s_waitcnt lgkmcnt(0)
	s_barrier
	s_mov_b64 exec, s[0:1]
	s_cbranch_execz .LBB0_23
; %bb.22:
	global_load_dwordx2 v[0:1], v92, s[12:13]
	ds_read_b64 v[2:3], v92
	v_accvgpr_read_b32 v16, a2
	v_mad_u64_u32 v[6:7], s[0:1], s10, v16, 0
	v_mov_b32_e32 v10, v7
	v_mad_u64_u32 v[10:11], s[2:3], s11, v16, v[10:11]
	v_mov_b32_e32 v4, s14
	v_mov_b32_e32 v5, s15
	;; [unrolled: 1-line block ×3, first 2 shown]
	v_mad_u64_u32 v[8:9], s[2:3], s8, v14, 0
	v_lshl_add_u64 v[4:5], v[6:7], 3, v[4:5]
	s_mov_b32 s0, 0x10798010
	v_mov_b32_e32 v12, v9
	s_mov_b32 s1, 0x3f407980
	v_mad_u64_u32 v[12:13], s[2:3], s9, v14, v[12:13]
	v_mov_b32_e32 v9, v12
	v_lshl_add_u64 v[4:5], v[8:9], 3, v[4:5]
	v_mov_b32_e32 v12, 0x3a8
	s_mul_i32 s2, s9, 0x3a8
	v_mov_b32_e32 v93, 0
	s_movk_i32 s3, 0x1000
	s_waitcnt vmcnt(0) lgkmcnt(0)
	v_mul_f32_e32 v6, v3, v1
	v_mul_f32_e32 v1, v2, v1
	v_fmac_f32_e32 v6, v2, v0
	v_fma_f32 v2, v0, v3, -v1
	v_cvt_f64_f32_e32 v[0:1], v6
	v_cvt_f64_f32_e32 v[2:3], v2
	v_mul_f64 v[0:1], v[0:1], s[0:1]
	v_mul_f64 v[2:3], v[2:3], s[0:1]
	v_cvt_f32_f64_e32 v0, v[0:1]
	v_cvt_f32_f64_e32 v1, v[2:3]
	global_store_dwordx2 v[4:5], v[0:1], off
	global_load_dwordx2 v[6:7], v92, s[12:13] offset:936
	ds_read2_b64 v[0:3], v92 offset0:117 offset1:234
	v_mad_u64_u32 v[4:5], s[4:5], s8, v12, v[4:5]
	v_add_u32_e32 v5, s2, v5
	s_waitcnt vmcnt(0) lgkmcnt(0)
	v_mul_f32_e32 v8, v1, v7
	v_mul_f32_e32 v7, v0, v7
	v_fmac_f32_e32 v8, v0, v6
	v_fma_f32 v6, v6, v1, -v7
	v_cvt_f64_f32_e32 v[0:1], v8
	v_cvt_f64_f32_e32 v[6:7], v6
	v_mul_f64 v[0:1], v[0:1], s[0:1]
	v_mul_f64 v[6:7], v[6:7], s[0:1]
	v_cvt_f32_f64_e32 v0, v[0:1]
	v_cvt_f32_f64_e32 v1, v[6:7]
	global_store_dwordx2 v[4:5], v[0:1], off
	global_load_dwordx2 v[0:1], v92, s[12:13] offset:1872
	v_mad_u64_u32 v[4:5], s[4:5], s8, v12, v[4:5]
	v_add_u32_e32 v5, s2, v5
	s_waitcnt vmcnt(0)
	v_mul_f32_e32 v6, v3, v1
	v_mul_f32_e32 v1, v2, v1
	v_fmac_f32_e32 v6, v2, v0
	v_fma_f32 v2, v0, v3, -v1
	v_cvt_f64_f32_e32 v[0:1], v6
	v_cvt_f64_f32_e32 v[2:3], v2
	v_mul_f64 v[0:1], v[0:1], s[0:1]
	v_mul_f64 v[2:3], v[2:3], s[0:1]
	v_cvt_f32_f64_e32 v0, v[0:1]
	v_cvt_f32_f64_e32 v1, v[2:3]
	global_store_dwordx2 v[4:5], v[0:1], off
	global_load_dwordx2 v[6:7], v92, s[12:13] offset:2808
	v_add_u32_e32 v0, 0x800, v92
	ds_read2_b64 v[0:3], v0 offset0:95 offset1:212
	v_mad_u64_u32 v[4:5], s[4:5], s8, v12, v[4:5]
	v_add_u32_e32 v5, s2, v5
	v_mad_u64_u32 v[10:11], s[4:5], s8, v12, v[4:5]
	v_add_u32_e32 v11, s2, v11
	s_waitcnt vmcnt(0) lgkmcnt(0)
	v_mul_f32_e32 v8, v1, v7
	v_mul_f32_e32 v7, v0, v7
	v_fmac_f32_e32 v8, v0, v6
	v_fma_f32 v6, v6, v1, -v7
	v_cvt_f64_f32_e32 v[0:1], v8
	v_cvt_f64_f32_e32 v[6:7], v6
	v_mul_f64 v[0:1], v[0:1], s[0:1]
	v_mul_f64 v[6:7], v[6:7], s[0:1]
	v_cvt_f32_f64_e32 v0, v[0:1]
	v_cvt_f32_f64_e32 v1, v[6:7]
	global_store_dwordx2 v[4:5], v[0:1], off
	global_load_dwordx2 v[6:7], v92, s[12:13] offset:3744
	v_lshl_add_u64 v[0:1], s[12:13], 0, v[92:93]
	v_add_co_u32_e32 v8, vcc, s3, v0
	s_movk_i32 s3, 0x2000
	s_nop 0
	v_addc_co_u32_e32 v9, vcc, 0, v1, vcc
	s_waitcnt vmcnt(0)
	v_mul_f32_e32 v4, v3, v7
	v_mul_f32_e32 v5, v2, v7
	v_fmac_f32_e32 v4, v2, v6
	v_fma_f32 v5, v6, v3, -v5
	v_cvt_f64_f32_e32 v[2:3], v4
	v_cvt_f64_f32_e32 v[4:5], v5
	v_mul_f64 v[2:3], v[2:3], s[0:1]
	v_mul_f64 v[4:5], v[4:5], s[0:1]
	v_cvt_f32_f64_e32 v2, v[2:3]
	v_cvt_f32_f64_e32 v3, v[4:5]
	global_store_dwordx2 v[10:11], v[2:3], off
	global_load_dwordx2 v[6:7], v[8:9], off offset:584
	v_add_u32_e32 v2, 0x1000, v92
	ds_read2_b64 v[2:5], v2 offset0:73 offset1:190
	v_mad_u64_u32 v[10:11], s[4:5], s8, v12, v[10:11]
	v_add_u32_e32 v11, s2, v11
	s_waitcnt vmcnt(0) lgkmcnt(0)
	v_mul_f32_e32 v13, v3, v7
	v_mul_f32_e32 v7, v2, v7
	v_fmac_f32_e32 v13, v2, v6
	v_fma_f32 v6, v6, v3, -v7
	v_cvt_f64_f32_e32 v[2:3], v13
	v_cvt_f64_f32_e32 v[6:7], v6
	v_mul_f64 v[2:3], v[2:3], s[0:1]
	v_mul_f64 v[6:7], v[6:7], s[0:1]
	v_cvt_f32_f64_e32 v2, v[2:3]
	v_cvt_f32_f64_e32 v3, v[6:7]
	global_store_dwordx2 v[10:11], v[2:3], off
	global_load_dwordx2 v[2:3], v[8:9], off offset:1520
	v_mad_u64_u32 v[6:7], s[4:5], s8, v12, v[10:11]
	v_add_u32_e32 v7, s2, v7
	s_waitcnt vmcnt(0)
	v_mul_f32_e32 v10, v5, v3
	v_mul_f32_e32 v3, v4, v3
	v_fmac_f32_e32 v10, v4, v2
	v_fma_f32 v4, v2, v5, -v3
	v_cvt_f64_f32_e32 v[2:3], v10
	v_cvt_f64_f32_e32 v[4:5], v4
	v_mul_f64 v[2:3], v[2:3], s[0:1]
	v_mul_f64 v[4:5], v[4:5], s[0:1]
	v_cvt_f32_f64_e32 v2, v[2:3]
	v_cvt_f32_f64_e32 v3, v[4:5]
	global_store_dwordx2 v[6:7], v[2:3], off
	global_load_dwordx2 v[10:11], v[8:9], off offset:2456
	v_add_u32_e32 v2, 0x1800, v92
	ds_read2_b64 v[2:5], v2 offset0:51 offset1:168
	v_mad_u64_u32 v[6:7], s[4:5], s8, v12, v[6:7]
	v_add_u32_e32 v7, s2, v7
	s_waitcnt vmcnt(0) lgkmcnt(0)
	v_mul_f32_e32 v13, v3, v11
	v_mul_f32_e32 v11, v2, v11
	v_fmac_f32_e32 v13, v2, v10
	v_fma_f32 v10, v10, v3, -v11
	v_cvt_f64_f32_e32 v[2:3], v13
	v_cvt_f64_f32_e32 v[10:11], v10
	v_mul_f64 v[2:3], v[2:3], s[0:1]
	v_mul_f64 v[10:11], v[10:11], s[0:1]
	v_cvt_f32_f64_e32 v2, v[2:3]
	v_cvt_f32_f64_e32 v3, v[10:11]
	global_store_dwordx2 v[6:7], v[2:3], off
	global_load_dwordx2 v[2:3], v[8:9], off offset:3392
	v_mad_u64_u32 v[6:7], s[4:5], s8, v12, v[6:7]
	v_add_co_u32_e32 v8, vcc, s3, v0
	v_add_u32_e32 v7, s2, v7
	s_nop 0
	v_addc_co_u32_e32 v9, vcc, 0, v1, vcc
	s_movk_i32 s3, 0x3000
	s_waitcnt vmcnt(0)
	v_mul_f32_e32 v10, v5, v3
	v_mul_f32_e32 v3, v4, v3
	v_fmac_f32_e32 v10, v4, v2
	v_fma_f32 v4, v2, v5, -v3
	v_cvt_f64_f32_e32 v[2:3], v10
	v_cvt_f64_f32_e32 v[4:5], v4
	v_mul_f64 v[2:3], v[2:3], s[0:1]
	v_mul_f64 v[4:5], v[4:5], s[0:1]
	v_cvt_f32_f64_e32 v2, v[2:3]
	v_cvt_f32_f64_e32 v3, v[4:5]
	global_store_dwordx2 v[6:7], v[2:3], off
	global_load_dwordx2 v[10:11], v[8:9], off offset:232
	v_add_u32_e32 v2, 0x2000, v92
	ds_read2_b64 v[2:5], v2 offset0:29 offset1:146
	v_mad_u64_u32 v[6:7], s[4:5], s8, v12, v[6:7]
	v_add_u32_e32 v7, s2, v7
	s_waitcnt vmcnt(0) lgkmcnt(0)
	v_mul_f32_e32 v13, v3, v11
	v_mul_f32_e32 v11, v2, v11
	v_fmac_f32_e32 v13, v2, v10
	v_fma_f32 v10, v10, v3, -v11
	v_cvt_f64_f32_e32 v[2:3], v13
	v_cvt_f64_f32_e32 v[10:11], v10
	v_mul_f64 v[2:3], v[2:3], s[0:1]
	v_mul_f64 v[10:11], v[10:11], s[0:1]
	v_cvt_f32_f64_e32 v2, v[2:3]
	v_cvt_f32_f64_e32 v3, v[10:11]
	global_store_dwordx2 v[6:7], v[2:3], off
	global_load_dwordx2 v[2:3], v[8:9], off offset:1168
	v_mad_u64_u32 v[6:7], s[4:5], s8, v12, v[6:7]
	v_add_u32_e32 v7, s2, v7
	s_waitcnt vmcnt(0)
	v_mul_f32_e32 v10, v5, v3
	v_mul_f32_e32 v3, v4, v3
	v_fmac_f32_e32 v10, v4, v2
	v_fma_f32 v4, v2, v5, -v3
	v_cvt_f64_f32_e32 v[2:3], v10
	v_cvt_f64_f32_e32 v[4:5], v4
	v_mul_f64 v[2:3], v[2:3], s[0:1]
	v_mul_f64 v[4:5], v[4:5], s[0:1]
	v_cvt_f32_f64_e32 v2, v[2:3]
	v_cvt_f32_f64_e32 v3, v[4:5]
	global_store_dwordx2 v[6:7], v[2:3], off
	global_load_dwordx2 v[10:11], v[8:9], off offset:2104
	v_add_u32_e32 v2, 0x2800, v92
	ds_read2_b64 v[2:5], v2 offset0:7 offset1:124
	v_mad_u64_u32 v[6:7], s[4:5], s8, v12, v[6:7]
	v_add_u32_e32 v7, s2, v7
	s_waitcnt vmcnt(0) lgkmcnt(0)
	v_mul_f32_e32 v13, v3, v11
	v_mul_f32_e32 v11, v2, v11
	v_fmac_f32_e32 v13, v2, v10
	v_fma_f32 v10, v10, v3, -v11
	v_cvt_f64_f32_e32 v[2:3], v13
	v_cvt_f64_f32_e32 v[10:11], v10
	v_mul_f64 v[2:3], v[2:3], s[0:1]
	v_mul_f64 v[10:11], v[10:11], s[0:1]
	v_cvt_f32_f64_e32 v2, v[2:3]
	v_cvt_f32_f64_e32 v3, v[10:11]
	global_store_dwordx2 v[6:7], v[2:3], off
	global_load_dwordx2 v[2:3], v[8:9], off offset:3040
	v_mad_u64_u32 v[6:7], s[4:5], s8, v12, v[6:7]
	v_add_u32_e32 v7, s2, v7
	s_waitcnt vmcnt(0)
	v_mul_f32_e32 v10, v5, v3
	v_mul_f32_e32 v3, v4, v3
	v_fmac_f32_e32 v10, v4, v2
	v_fma_f32 v4, v2, v5, -v3
	v_cvt_f64_f32_e32 v[2:3], v10
	v_cvt_f64_f32_e32 v[4:5], v4
	v_mul_f64 v[2:3], v[2:3], s[0:1]
	v_mul_f64 v[4:5], v[4:5], s[0:1]
	v_cvt_f32_f64_e32 v2, v[2:3]
	v_cvt_f32_f64_e32 v3, v[4:5]
	global_store_dwordx2 v[6:7], v[2:3], off
	global_load_dwordx2 v[8:9], v[8:9], off offset:3976
	v_add_u32_e32 v2, 0x2c00, v92
	ds_read2_b64 v[2:5], v2 offset0:113 offset1:230
	v_add_co_u32_e32 v10, vcc, s3, v0
	s_nop 1
	v_addc_co_u32_e32 v11, vcc, 0, v1, vcc
	v_mad_u64_u32 v[0:1], s[4:5], s8, v12, v[6:7]
	v_add_u32_e32 v1, s2, v1
	s_waitcnt vmcnt(0) lgkmcnt(0)
	v_mul_f32_e32 v6, v3, v9
	v_mul_f32_e32 v7, v2, v9
	v_fmac_f32_e32 v6, v2, v8
	v_fma_f32 v7, v8, v3, -v7
	v_cvt_f64_f32_e32 v[2:3], v6
	v_cvt_f64_f32_e32 v[6:7], v7
	v_mul_f64 v[2:3], v[2:3], s[0:1]
	v_mul_f64 v[6:7], v[6:7], s[0:1]
	v_cvt_f32_f64_e32 v2, v[2:3]
	v_cvt_f32_f64_e32 v3, v[6:7]
	global_store_dwordx2 v[0:1], v[2:3], off
	global_load_dwordx2 v[2:3], v[10:11], off offset:816
	v_mad_u64_u32 v[6:7], s[4:5], s8, v12, v[0:1]
	v_add_u32_e32 v7, s2, v7
	s_waitcnt vmcnt(0)
	v_mul_f32_e32 v0, v5, v3
	v_mul_f32_e32 v1, v4, v3
	v_fmac_f32_e32 v0, v4, v2
	v_fma_f32 v2, v2, v5, -v1
	v_cvt_f64_f32_e32 v[0:1], v0
	v_cvt_f64_f32_e32 v[2:3], v2
	v_mul_f64 v[0:1], v[0:1], s[0:1]
	v_mul_f64 v[2:3], v[2:3], s[0:1]
	v_cvt_f32_f64_e32 v0, v[0:1]
	v_cvt_f32_f64_e32 v1, v[2:3]
	global_store_dwordx2 v[6:7], v[0:1], off
	global_load_dwordx2 v[4:5], v[10:11], off offset:1752
	v_add_u32_e32 v0, 0x3400, v92
	ds_read2_b64 v[0:3], v0 offset0:91 offset1:208
	v_mad_u64_u32 v[6:7], s[4:5], s8, v12, v[6:7]
	v_add_u32_e32 v7, s2, v7
	s_waitcnt vmcnt(0) lgkmcnt(0)
	v_mul_f32_e32 v8, v1, v5
	v_mul_f32_e32 v5, v0, v5
	v_fmac_f32_e32 v8, v0, v4
	v_fma_f32 v4, v4, v1, -v5
	v_cvt_f64_f32_e32 v[0:1], v8
	v_cvt_f64_f32_e32 v[4:5], v4
	v_mul_f64 v[0:1], v[0:1], s[0:1]
	v_mul_f64 v[4:5], v[4:5], s[0:1]
	v_cvt_f32_f64_e32 v0, v[0:1]
	v_cvt_f32_f64_e32 v1, v[4:5]
	global_store_dwordx2 v[6:7], v[0:1], off
	global_load_dwordx2 v[0:1], v[10:11], off offset:2688
	v_mad_u64_u32 v[4:5], s[4:5], s8, v12, v[6:7]
	v_add_u32_e32 v5, s2, v5
	s_waitcnt vmcnt(0)
	v_mul_f32_e32 v6, v3, v1
	v_mul_f32_e32 v1, v2, v1
	v_fmac_f32_e32 v6, v2, v0
	v_fma_f32 v2, v0, v3, -v1
	v_cvt_f64_f32_e32 v[0:1], v6
	v_cvt_f64_f32_e32 v[2:3], v2
	v_mul_f64 v[0:1], v[0:1], s[0:1]
	v_mul_f64 v[2:3], v[2:3], s[0:1]
	v_cvt_f32_f64_e32 v0, v[0:1]
	v_cvt_f32_f64_e32 v1, v[2:3]
	global_store_dwordx2 v[4:5], v[0:1], off
.LBB0_23:
	s_endpgm
	.section	.rodata,"a",@progbits
	.p2align	6, 0x0
	.amdhsa_kernel bluestein_single_back_len1989_dim1_sp_op_CI_CI
		.amdhsa_group_segment_fixed_size 15912
		.amdhsa_private_segment_fixed_size 0
		.amdhsa_kernarg_size 104
		.amdhsa_user_sgpr_count 2
		.amdhsa_user_sgpr_dispatch_ptr 0
		.amdhsa_user_sgpr_queue_ptr 0
		.amdhsa_user_sgpr_kernarg_segment_ptr 1
		.amdhsa_user_sgpr_dispatch_id 0
		.amdhsa_user_sgpr_kernarg_preload_length 0
		.amdhsa_user_sgpr_kernarg_preload_offset 0
		.amdhsa_user_sgpr_private_segment_size 0
		.amdhsa_uses_dynamic_stack 0
		.amdhsa_enable_private_segment 0
		.amdhsa_system_sgpr_workgroup_id_x 1
		.amdhsa_system_sgpr_workgroup_id_y 0
		.amdhsa_system_sgpr_workgroup_id_z 0
		.amdhsa_system_sgpr_workgroup_info 0
		.amdhsa_system_vgpr_workitem_id 0
		.amdhsa_next_free_vgpr 324
		.amdhsa_next_free_sgpr 74
		.amdhsa_accum_offset 256
		.amdhsa_reserve_vcc 1
		.amdhsa_float_round_mode_32 0
		.amdhsa_float_round_mode_16_64 0
		.amdhsa_float_denorm_mode_32 3
		.amdhsa_float_denorm_mode_16_64 3
		.amdhsa_dx10_clamp 1
		.amdhsa_ieee_mode 1
		.amdhsa_fp16_overflow 0
		.amdhsa_tg_split 0
		.amdhsa_exception_fp_ieee_invalid_op 0
		.amdhsa_exception_fp_denorm_src 0
		.amdhsa_exception_fp_ieee_div_zero 0
		.amdhsa_exception_fp_ieee_overflow 0
		.amdhsa_exception_fp_ieee_underflow 0
		.amdhsa_exception_fp_ieee_inexact 0
		.amdhsa_exception_int_div_zero 0
	.end_amdhsa_kernel
	.text
.Lfunc_end0:
	.size	bluestein_single_back_len1989_dim1_sp_op_CI_CI, .Lfunc_end0-bluestein_single_back_len1989_dim1_sp_op_CI_CI
                                        ; -- End function
	.section	.AMDGPU.csdata,"",@progbits
; Kernel info:
; codeLenInByte = 24600
; NumSgprs: 80
; NumVgprs: 256
; NumAgprs: 68
; TotalNumVgprs: 324
; ScratchSize: 0
; MemoryBound: 0
; FloatMode: 240
; IeeeMode: 1
; LDSByteSize: 15912 bytes/workgroup (compile time only)
; SGPRBlocks: 9
; VGPRBlocks: 40
; NumSGPRsForWavesPerEU: 80
; NumVGPRsForWavesPerEU: 324
; AccumOffset: 256
; Occupancy: 1
; WaveLimiterHint : 1
; COMPUTE_PGM_RSRC2:SCRATCH_EN: 0
; COMPUTE_PGM_RSRC2:USER_SGPR: 2
; COMPUTE_PGM_RSRC2:TRAP_HANDLER: 0
; COMPUTE_PGM_RSRC2:TGID_X_EN: 1
; COMPUTE_PGM_RSRC2:TGID_Y_EN: 0
; COMPUTE_PGM_RSRC2:TGID_Z_EN: 0
; COMPUTE_PGM_RSRC2:TIDIG_COMP_CNT: 0
; COMPUTE_PGM_RSRC3_GFX90A:ACCUM_OFFSET: 63
; COMPUTE_PGM_RSRC3_GFX90A:TG_SPLIT: 0
	.text
	.p2alignl 6, 3212836864
	.fill 256, 4, 3212836864
	.type	__hip_cuid_acbcc86403532526,@object ; @__hip_cuid_acbcc86403532526
	.section	.bss,"aw",@nobits
	.globl	__hip_cuid_acbcc86403532526
__hip_cuid_acbcc86403532526:
	.byte	0                               ; 0x0
	.size	__hip_cuid_acbcc86403532526, 1

	.ident	"AMD clang version 19.0.0git (https://github.com/RadeonOpenCompute/llvm-project roc-6.4.0 25133 c7fe45cf4b819c5991fe208aaa96edf142730f1d)"
	.section	".note.GNU-stack","",@progbits
	.addrsig
	.addrsig_sym __hip_cuid_acbcc86403532526
	.amdgpu_metadata
---
amdhsa.kernels:
  - .agpr_count:     68
    .args:
      - .actual_access:  read_only
        .address_space:  global
        .offset:         0
        .size:           8
        .value_kind:     global_buffer
      - .actual_access:  read_only
        .address_space:  global
        .offset:         8
        .size:           8
        .value_kind:     global_buffer
      - .actual_access:  read_only
        .address_space:  global
        .offset:         16
        .size:           8
        .value_kind:     global_buffer
      - .actual_access:  read_only
        .address_space:  global
        .offset:         24
        .size:           8
        .value_kind:     global_buffer
      - .actual_access:  read_only
        .address_space:  global
        .offset:         32
        .size:           8
        .value_kind:     global_buffer
      - .offset:         40
        .size:           8
        .value_kind:     by_value
      - .address_space:  global
        .offset:         48
        .size:           8
        .value_kind:     global_buffer
      - .address_space:  global
        .offset:         56
        .size:           8
        .value_kind:     global_buffer
      - .address_space:  global
        .offset:         64
        .size:           8
        .value_kind:     global_buffer
      - .address_space:  global
        .offset:         72
        .size:           8
        .value_kind:     global_buffer
      - .offset:         80
        .size:           4
        .value_kind:     by_value
      - .address_space:  global
        .offset:         88
        .size:           8
        .value_kind:     global_buffer
      - .address_space:  global
        .offset:         96
        .size:           8
        .value_kind:     global_buffer
    .group_segment_fixed_size: 15912
    .kernarg_segment_align: 8
    .kernarg_segment_size: 104
    .language:       OpenCL C
    .language_version:
      - 2
      - 0
    .max_flat_workgroup_size: 153
    .name:           bluestein_single_back_len1989_dim1_sp_op_CI_CI
    .private_segment_fixed_size: 0
    .sgpr_count:     80
    .sgpr_spill_count: 0
    .symbol:         bluestein_single_back_len1989_dim1_sp_op_CI_CI.kd
    .uniform_work_group_size: 1
    .uses_dynamic_stack: false
    .vgpr_count:     324
    .vgpr_spill_count: 0
    .wavefront_size: 64
amdhsa.target:   amdgcn-amd-amdhsa--gfx950
amdhsa.version:
  - 1
  - 2
...

	.end_amdgpu_metadata
